;; amdgpu-corpus repo=ROCm/hipCUB kind=compiled arch=gfx906 opt=O3
	.amdgcn_target "amdgcn-amd-amdhsa--gfx906"
	.amdhsa_code_object_version 6
	.section	.text._Z13reduce_kernelILj377ELN6hipcub20BlockReduceAlgorithmE2EhEvPT1_S3_,"axG",@progbits,_Z13reduce_kernelILj377ELN6hipcub20BlockReduceAlgorithmE2EhEvPT1_S3_,comdat
	.protected	_Z13reduce_kernelILj377ELN6hipcub20BlockReduceAlgorithmE2EhEvPT1_S3_ ; -- Begin function _Z13reduce_kernelILj377ELN6hipcub20BlockReduceAlgorithmE2EhEvPT1_S3_
	.globl	_Z13reduce_kernelILj377ELN6hipcub20BlockReduceAlgorithmE2EhEvPT1_S3_
	.p2align	8
	.type	_Z13reduce_kernelILj377ELN6hipcub20BlockReduceAlgorithmE2EhEvPT1_S3_,@function
_Z13reduce_kernelILj377ELN6hipcub20BlockReduceAlgorithmE2EhEvPT1_S3_: ; @_Z13reduce_kernelILj377ELN6hipcub20BlockReduceAlgorithmE2EhEvPT1_S3_
; %bb.0:
	s_load_dwordx4 s[0:3], s[4:5], 0x0
	s_mul_i32 s4, s6, 0x179
	v_add_u32_e32 v1, s4, v0
	v_cmp_lt_u32_e32 vcc, 63, v0
	s_waitcnt lgkmcnt(0)
	global_load_ubyte v1, v1, s[0:1]
	s_and_saveexec_b64 s[0:1], vcc
	s_cbranch_execz .LBB0_2
; %bb.1:
	s_waitcnt vmcnt(0)
	ds_write_b8 v0, v1
.LBB0_2:
	s_or_b64 exec, exec, s[0:1]
	v_cmp_gt_u32_e32 vcc, 64, v0
	s_waitcnt vmcnt(0) lgkmcnt(0)
	s_barrier
	s_and_saveexec_b64 s[0:1], vcc
	s_cbranch_execnz .LBB0_5
; %bb.3:
	s_or_b64 exec, exec, s[0:1]
	v_cmp_eq_u32_e32 vcc, 0, v0
	s_and_saveexec_b64 s[0:1], vcc
	s_cbranch_execnz .LBB0_8
.LBB0_4:
	s_endpgm
.LBB0_5:
	ds_read_u8 v2, v0 offset:64
	ds_read_u8 v3, v0 offset:128
	;; [unrolled: 1-line block ×4, first 2 shown]
	v_or_b32_e32 v6, 0x140, v0
	s_waitcnt lgkmcnt(3)
	v_add_u16_e32 v1, v2, v1
	s_waitcnt lgkmcnt(2)
	v_add_u16_e32 v1, v1, v3
	;; [unrolled: 2-line block ×3, first 2 shown]
	s_movk_i32 s4, 0x179
	s_waitcnt lgkmcnt(0)
	v_add_u16_e32 v1, v1, v5
	v_cmp_gt_u32_e32 vcc, s4, v6
	s_and_saveexec_b64 s[4:5], vcc
	s_cbranch_execz .LBB0_7
; %bb.6:
	ds_read_u8 v2, v0 offset:320
	s_waitcnt lgkmcnt(0)
	v_add_u16_e32 v1, v2, v1
.LBB0_7:
	s_or_b64 exec, exec, s[4:5]
	v_and_b32_e32 v2, 0xff, v1
	v_bfrev_b32_e32 v3, 0.5
	s_nop 0
	v_mov_b32_dpp v2, v2 quad_perm:[1,0,3,2] row_mask:0xf bank_mask:0xf
	v_add_u16_e32 v1, v1, v2
	v_and_b32_e32 v2, 0xff, v1
	s_nop 1
	v_mov_b32_dpp v2, v2 quad_perm:[2,3,0,1] row_mask:0xf bank_mask:0xf
	v_add_u16_e32 v1, v1, v2
	v_and_b32_e32 v2, 0xff, v1
	s_nop 1
	v_mov_b32_dpp v2, v2 row_ror:4 row_mask:0xf bank_mask:0xf
	v_add_u16_e32 v1, v1, v2
	v_and_b32_e32 v2, 0xff, v1
	s_nop 1
	v_mov_b32_dpp v2, v2 row_ror:8 row_mask:0xf bank_mask:0xf
	v_add_u16_e32 v1, v1, v2
	v_and_b32_e32 v2, 0xff, v1
	s_nop 1
	v_mov_b32_dpp v2, v2 row_bcast:15 row_mask:0xf bank_mask:0xf
	v_add_u16_e32 v1, v1, v2
	v_and_b32_e32 v2, 0xff, v1
	s_nop 1
	v_mov_b32_dpp v2, v2 row_bcast:31 row_mask:0xf bank_mask:0xf
	v_add_u16_e32 v1, v1, v2
	v_mbcnt_lo_u32_b32 v2, -1, 0
	v_mbcnt_hi_u32_b32 v2, -1, v2
	v_lshl_or_b32 v2, v2, 2, v3
	v_and_b32_e32 v1, 0xff, v1
	ds_bpermute_b32 v1, v2, v1
	s_or_b64 exec, exec, s[0:1]
	v_cmp_eq_u32_e32 vcc, 0, v0
	s_and_saveexec_b64 s[0:1], vcc
	s_cbranch_execz .LBB0_4
.LBB0_8:
	v_mov_b32_e32 v0, s6
	s_waitcnt lgkmcnt(0)
	global_store_byte v0, v1, s[2:3]
	s_endpgm
	.section	.rodata,"a",@progbits
	.p2align	6, 0x0
	.amdhsa_kernel _Z13reduce_kernelILj377ELN6hipcub20BlockReduceAlgorithmE2EhEvPT1_S3_
		.amdhsa_group_segment_fixed_size 377
		.amdhsa_private_segment_fixed_size 0
		.amdhsa_kernarg_size 16
		.amdhsa_user_sgpr_count 6
		.amdhsa_user_sgpr_private_segment_buffer 1
		.amdhsa_user_sgpr_dispatch_ptr 0
		.amdhsa_user_sgpr_queue_ptr 0
		.amdhsa_user_sgpr_kernarg_segment_ptr 1
		.amdhsa_user_sgpr_dispatch_id 0
		.amdhsa_user_sgpr_flat_scratch_init 0
		.amdhsa_user_sgpr_private_segment_size 0
		.amdhsa_uses_dynamic_stack 0
		.amdhsa_system_sgpr_private_segment_wavefront_offset 0
		.amdhsa_system_sgpr_workgroup_id_x 1
		.amdhsa_system_sgpr_workgroup_id_y 0
		.amdhsa_system_sgpr_workgroup_id_z 0
		.amdhsa_system_sgpr_workgroup_info 0
		.amdhsa_system_vgpr_workitem_id 0
		.amdhsa_next_free_vgpr 7
		.amdhsa_next_free_sgpr 7
		.amdhsa_reserve_vcc 1
		.amdhsa_reserve_flat_scratch 0
		.amdhsa_float_round_mode_32 0
		.amdhsa_float_round_mode_16_64 0
		.amdhsa_float_denorm_mode_32 3
		.amdhsa_float_denorm_mode_16_64 3
		.amdhsa_dx10_clamp 1
		.amdhsa_ieee_mode 1
		.amdhsa_fp16_overflow 0
		.amdhsa_exception_fp_ieee_invalid_op 0
		.amdhsa_exception_fp_denorm_src 0
		.amdhsa_exception_fp_ieee_div_zero 0
		.amdhsa_exception_fp_ieee_overflow 0
		.amdhsa_exception_fp_ieee_underflow 0
		.amdhsa_exception_fp_ieee_inexact 0
		.amdhsa_exception_int_div_zero 0
	.end_amdhsa_kernel
	.section	.text._Z13reduce_kernelILj377ELN6hipcub20BlockReduceAlgorithmE2EhEvPT1_S3_,"axG",@progbits,_Z13reduce_kernelILj377ELN6hipcub20BlockReduceAlgorithmE2EhEvPT1_S3_,comdat
.Lfunc_end0:
	.size	_Z13reduce_kernelILj377ELN6hipcub20BlockReduceAlgorithmE2EhEvPT1_S3_, .Lfunc_end0-_Z13reduce_kernelILj377ELN6hipcub20BlockReduceAlgorithmE2EhEvPT1_S3_
                                        ; -- End function
	.set _Z13reduce_kernelILj377ELN6hipcub20BlockReduceAlgorithmE2EhEvPT1_S3_.num_vgpr, 7
	.set _Z13reduce_kernelILj377ELN6hipcub20BlockReduceAlgorithmE2EhEvPT1_S3_.num_agpr, 0
	.set _Z13reduce_kernelILj377ELN6hipcub20BlockReduceAlgorithmE2EhEvPT1_S3_.numbered_sgpr, 7
	.set _Z13reduce_kernelILj377ELN6hipcub20BlockReduceAlgorithmE2EhEvPT1_S3_.num_named_barrier, 0
	.set _Z13reduce_kernelILj377ELN6hipcub20BlockReduceAlgorithmE2EhEvPT1_S3_.private_seg_size, 0
	.set _Z13reduce_kernelILj377ELN6hipcub20BlockReduceAlgorithmE2EhEvPT1_S3_.uses_vcc, 1
	.set _Z13reduce_kernelILj377ELN6hipcub20BlockReduceAlgorithmE2EhEvPT1_S3_.uses_flat_scratch, 0
	.set _Z13reduce_kernelILj377ELN6hipcub20BlockReduceAlgorithmE2EhEvPT1_S3_.has_dyn_sized_stack, 0
	.set _Z13reduce_kernelILj377ELN6hipcub20BlockReduceAlgorithmE2EhEvPT1_S3_.has_recursion, 0
	.set _Z13reduce_kernelILj377ELN6hipcub20BlockReduceAlgorithmE2EhEvPT1_S3_.has_indirect_call, 0
	.section	.AMDGPU.csdata,"",@progbits
; Kernel info:
; codeLenInByte = 432
; TotalNumSgprs: 11
; NumVgprs: 7
; ScratchSize: 0
; MemoryBound: 0
; FloatMode: 240
; IeeeMode: 1
; LDSByteSize: 377 bytes/workgroup (compile time only)
; SGPRBlocks: 1
; VGPRBlocks: 1
; NumSGPRsForWavesPerEU: 11
; NumVGPRsForWavesPerEU: 7
; Occupancy: 10
; WaveLimiterHint : 0
; COMPUTE_PGM_RSRC2:SCRATCH_EN: 0
; COMPUTE_PGM_RSRC2:USER_SGPR: 6
; COMPUTE_PGM_RSRC2:TRAP_HANDLER: 0
; COMPUTE_PGM_RSRC2:TGID_X_EN: 1
; COMPUTE_PGM_RSRC2:TGID_Y_EN: 0
; COMPUTE_PGM_RSRC2:TGID_Z_EN: 0
; COMPUTE_PGM_RSRC2:TIDIG_COMP_CNT: 0
	.section	.text._Z13reduce_kernelILj377ELN6hipcub20BlockReduceAlgorithmE2EiEvPT1_S3_,"axG",@progbits,_Z13reduce_kernelILj377ELN6hipcub20BlockReduceAlgorithmE2EiEvPT1_S3_,comdat
	.protected	_Z13reduce_kernelILj377ELN6hipcub20BlockReduceAlgorithmE2EiEvPT1_S3_ ; -- Begin function _Z13reduce_kernelILj377ELN6hipcub20BlockReduceAlgorithmE2EiEvPT1_S3_
	.globl	_Z13reduce_kernelILj377ELN6hipcub20BlockReduceAlgorithmE2EiEvPT1_S3_
	.p2align	8
	.type	_Z13reduce_kernelILj377ELN6hipcub20BlockReduceAlgorithmE2EiEvPT1_S3_,@function
_Z13reduce_kernelILj377ELN6hipcub20BlockReduceAlgorithmE2EiEvPT1_S3_: ; @_Z13reduce_kernelILj377ELN6hipcub20BlockReduceAlgorithmE2EiEvPT1_S3_
; %bb.0:
	s_load_dwordx4 s[0:3], s[4:5], 0x0
	s_mul_i32 s4, s6, 0x179
	v_add_u32_e32 v1, s4, v0
	v_mov_b32_e32 v2, 0
	v_lshlrev_b64 v[1:2], 2, v[1:2]
	s_waitcnt lgkmcnt(0)
	v_mov_b32_e32 v3, s1
	v_add_co_u32_e32 v1, vcc, s0, v1
	v_addc_co_u32_e32 v2, vcc, v3, v2, vcc
	global_load_dword v1, v[1:2], off
	v_cmp_lt_u32_e32 vcc, 63, v0
	v_lshlrev_b32_e32 v2, 2, v0
	s_and_saveexec_b64 s[0:1], vcc
	s_cbranch_execz .LBB1_2
; %bb.1:
	s_waitcnt vmcnt(0)
	ds_write_b32 v2, v1
.LBB1_2:
	s_or_b64 exec, exec, s[0:1]
	v_cmp_gt_u32_e32 vcc, 64, v0
	s_waitcnt vmcnt(0) lgkmcnt(0)
	s_barrier
	s_and_saveexec_b64 s[0:1], vcc
	s_cbranch_execz .LBB1_6
; %bb.3:
	ds_read2st64_b32 v[3:4], v2 offset0:1 offset1:2
	ds_read2st64_b32 v[5:6], v2 offset0:3 offset1:4
	v_or_b32_e32 v7, 0x140, v0
	s_movk_i32 s4, 0x179
	v_cmp_gt_u32_e32 vcc, s4, v7
	s_waitcnt lgkmcnt(1)
	v_add3_u32 v1, v3, v1, v4
	s_waitcnt lgkmcnt(0)
	v_add3_u32 v1, v1, v5, v6
	s_and_saveexec_b64 s[4:5], vcc
	s_cbranch_execz .LBB1_5
; %bb.4:
	ds_read_b32 v2, v2 offset:1280
	s_waitcnt lgkmcnt(0)
	v_add_u32_e32 v1, v2, v1
.LBB1_5:
	s_or_b64 exec, exec, s[4:5]
	s_nop 0
	v_mov_b32_dpp v2, v1 quad_perm:[1,0,3,2] row_mask:0xf bank_mask:0xf
	v_add_u32_e32 v1, v2, v1
	v_bfrev_b32_e32 v3, 0.5
	s_nop 0
	v_mov_b32_dpp v2, v1 quad_perm:[2,3,0,1] row_mask:0xf bank_mask:0xf
	v_add_u32_e32 v1, v1, v2
	s_nop 1
	v_mov_b32_dpp v2, v1 row_ror:4 row_mask:0xf bank_mask:0xf
	v_add_u32_e32 v1, v1, v2
	s_nop 1
	v_mov_b32_dpp v2, v1 row_ror:8 row_mask:0xf bank_mask:0xf
	v_add_u32_e32 v1, v1, v2
	s_nop 1
	v_mov_b32_dpp v2, v1 row_bcast:15 row_mask:0xf bank_mask:0xf
	v_add_u32_e32 v1, v1, v2
	s_nop 1
	v_mov_b32_dpp v2, v1 row_bcast:31 row_mask:0xf bank_mask:0xf
	v_add_u32_e32 v1, v1, v2
	v_mbcnt_lo_u32_b32 v2, -1, 0
	v_mbcnt_hi_u32_b32 v2, -1, v2
	v_lshl_or_b32 v2, v2, 2, v3
	ds_bpermute_b32 v1, v2, v1
.LBB1_6:
	s_or_b64 exec, exec, s[0:1]
	s_mov_b32 s7, 0
	v_cmp_eq_u32_e32 vcc, 0, v0
	s_and_saveexec_b64 s[0:1], vcc
	s_cbranch_execz .LBB1_8
; %bb.7:
	s_lshl_b64 s[0:1], s[6:7], 2
	s_add_u32 s0, s2, s0
	s_addc_u32 s1, s3, s1
	v_mov_b32_e32 v0, 0
	s_waitcnt lgkmcnt(0)
	global_store_dword v0, v1, s[0:1]
.LBB1_8:
	s_endpgm
	.section	.rodata,"a",@progbits
	.p2align	6, 0x0
	.amdhsa_kernel _Z13reduce_kernelILj377ELN6hipcub20BlockReduceAlgorithmE2EiEvPT1_S3_
		.amdhsa_group_segment_fixed_size 1508
		.amdhsa_private_segment_fixed_size 0
		.amdhsa_kernarg_size 16
		.amdhsa_user_sgpr_count 6
		.amdhsa_user_sgpr_private_segment_buffer 1
		.amdhsa_user_sgpr_dispatch_ptr 0
		.amdhsa_user_sgpr_queue_ptr 0
		.amdhsa_user_sgpr_kernarg_segment_ptr 1
		.amdhsa_user_sgpr_dispatch_id 0
		.amdhsa_user_sgpr_flat_scratch_init 0
		.amdhsa_user_sgpr_private_segment_size 0
		.amdhsa_uses_dynamic_stack 0
		.amdhsa_system_sgpr_private_segment_wavefront_offset 0
		.amdhsa_system_sgpr_workgroup_id_x 1
		.amdhsa_system_sgpr_workgroup_id_y 0
		.amdhsa_system_sgpr_workgroup_id_z 0
		.amdhsa_system_sgpr_workgroup_info 0
		.amdhsa_system_vgpr_workitem_id 0
		.amdhsa_next_free_vgpr 8
		.amdhsa_next_free_sgpr 8
		.amdhsa_reserve_vcc 1
		.amdhsa_reserve_flat_scratch 0
		.amdhsa_float_round_mode_32 0
		.amdhsa_float_round_mode_16_64 0
		.amdhsa_float_denorm_mode_32 3
		.amdhsa_float_denorm_mode_16_64 3
		.amdhsa_dx10_clamp 1
		.amdhsa_ieee_mode 1
		.amdhsa_fp16_overflow 0
		.amdhsa_exception_fp_ieee_invalid_op 0
		.amdhsa_exception_fp_denorm_src 0
		.amdhsa_exception_fp_ieee_div_zero 0
		.amdhsa_exception_fp_ieee_overflow 0
		.amdhsa_exception_fp_ieee_underflow 0
		.amdhsa_exception_fp_ieee_inexact 0
		.amdhsa_exception_int_div_zero 0
	.end_amdhsa_kernel
	.section	.text._Z13reduce_kernelILj377ELN6hipcub20BlockReduceAlgorithmE2EiEvPT1_S3_,"axG",@progbits,_Z13reduce_kernelILj377ELN6hipcub20BlockReduceAlgorithmE2EiEvPT1_S3_,comdat
.Lfunc_end1:
	.size	_Z13reduce_kernelILj377ELN6hipcub20BlockReduceAlgorithmE2EiEvPT1_S3_, .Lfunc_end1-_Z13reduce_kernelILj377ELN6hipcub20BlockReduceAlgorithmE2EiEvPT1_S3_
                                        ; -- End function
	.set _Z13reduce_kernelILj377ELN6hipcub20BlockReduceAlgorithmE2EiEvPT1_S3_.num_vgpr, 8
	.set _Z13reduce_kernelILj377ELN6hipcub20BlockReduceAlgorithmE2EiEvPT1_S3_.num_agpr, 0
	.set _Z13reduce_kernelILj377ELN6hipcub20BlockReduceAlgorithmE2EiEvPT1_S3_.numbered_sgpr, 8
	.set _Z13reduce_kernelILj377ELN6hipcub20BlockReduceAlgorithmE2EiEvPT1_S3_.num_named_barrier, 0
	.set _Z13reduce_kernelILj377ELN6hipcub20BlockReduceAlgorithmE2EiEvPT1_S3_.private_seg_size, 0
	.set _Z13reduce_kernelILj377ELN6hipcub20BlockReduceAlgorithmE2EiEvPT1_S3_.uses_vcc, 1
	.set _Z13reduce_kernelILj377ELN6hipcub20BlockReduceAlgorithmE2EiEvPT1_S3_.uses_flat_scratch, 0
	.set _Z13reduce_kernelILj377ELN6hipcub20BlockReduceAlgorithmE2EiEvPT1_S3_.has_dyn_sized_stack, 0
	.set _Z13reduce_kernelILj377ELN6hipcub20BlockReduceAlgorithmE2EiEvPT1_S3_.has_recursion, 0
	.set _Z13reduce_kernelILj377ELN6hipcub20BlockReduceAlgorithmE2EiEvPT1_S3_.has_indirect_call, 0
	.section	.AMDGPU.csdata,"",@progbits
; Kernel info:
; codeLenInByte = 376
; TotalNumSgprs: 12
; NumVgprs: 8
; ScratchSize: 0
; MemoryBound: 0
; FloatMode: 240
; IeeeMode: 1
; LDSByteSize: 1508 bytes/workgroup (compile time only)
; SGPRBlocks: 1
; VGPRBlocks: 1
; NumSGPRsForWavesPerEU: 12
; NumVGPRsForWavesPerEU: 8
; Occupancy: 10
; WaveLimiterHint : 0
; COMPUTE_PGM_RSRC2:SCRATCH_EN: 0
; COMPUTE_PGM_RSRC2:USER_SGPR: 6
; COMPUTE_PGM_RSRC2:TRAP_HANDLER: 0
; COMPUTE_PGM_RSRC2:TGID_X_EN: 1
; COMPUTE_PGM_RSRC2:TGID_Y_EN: 0
; COMPUTE_PGM_RSRC2:TGID_Z_EN: 0
; COMPUTE_PGM_RSRC2:TIDIG_COMP_CNT: 0
	.section	.text._Z13reduce_kernelILj255ELN6hipcub20BlockReduceAlgorithmE2EjEvPT1_S3_,"axG",@progbits,_Z13reduce_kernelILj255ELN6hipcub20BlockReduceAlgorithmE2EjEvPT1_S3_,comdat
	.protected	_Z13reduce_kernelILj255ELN6hipcub20BlockReduceAlgorithmE2EjEvPT1_S3_ ; -- Begin function _Z13reduce_kernelILj255ELN6hipcub20BlockReduceAlgorithmE2EjEvPT1_S3_
	.globl	_Z13reduce_kernelILj255ELN6hipcub20BlockReduceAlgorithmE2EjEvPT1_S3_
	.p2align	8
	.type	_Z13reduce_kernelILj255ELN6hipcub20BlockReduceAlgorithmE2EjEvPT1_S3_,@function
_Z13reduce_kernelILj255ELN6hipcub20BlockReduceAlgorithmE2EjEvPT1_S3_: ; @_Z13reduce_kernelILj255ELN6hipcub20BlockReduceAlgorithmE2EjEvPT1_S3_
; %bb.0:
	s_load_dwordx4 s[0:3], s[4:5], 0x0
	s_mul_i32 s4, s6, 0xff
	v_add_u32_e32 v1, s4, v0
	v_mov_b32_e32 v2, 0
	v_lshlrev_b64 v[1:2], 2, v[1:2]
	s_waitcnt lgkmcnt(0)
	v_mov_b32_e32 v3, s1
	v_add_co_u32_e32 v1, vcc, s0, v1
	v_addc_co_u32_e32 v2, vcc, v3, v2, vcc
	global_load_dword v1, v[1:2], off
	v_cmp_lt_u32_e32 vcc, 63, v0
	v_lshlrev_b32_e32 v2, 2, v0
	s_and_saveexec_b64 s[0:1], vcc
	s_cbranch_execz .LBB2_2
; %bb.1:
	s_waitcnt vmcnt(0)
	ds_write_b32 v2, v1
.LBB2_2:
	s_or_b64 exec, exec, s[0:1]
	v_cmp_gt_u32_e32 vcc, 64, v0
	s_waitcnt vmcnt(0) lgkmcnt(0)
	s_barrier
	s_and_saveexec_b64 s[0:1], vcc
	s_cbranch_execz .LBB2_6
; %bb.3:
	ds_read2st64_b32 v[3:4], v2 offset0:1 offset1:2
	v_or_b32_e32 v5, 0xc0, v0
	s_movk_i32 s4, 0xff
	v_cmp_gt_u32_e32 vcc, s4, v5
	s_waitcnt lgkmcnt(0)
	v_add3_u32 v1, v3, v1, v4
	s_and_saveexec_b64 s[4:5], vcc
	s_cbranch_execz .LBB2_5
; %bb.4:
	ds_read_b32 v2, v2 offset:768
	s_waitcnt lgkmcnt(0)
	v_add_u32_e32 v1, v2, v1
.LBB2_5:
	s_or_b64 exec, exec, s[4:5]
	s_nop 0
	v_mov_b32_dpp v2, v1 quad_perm:[1,0,3,2] row_mask:0xf bank_mask:0xf
	v_add_u32_e32 v1, v2, v1
	v_bfrev_b32_e32 v3, 0.5
	s_nop 0
	v_mov_b32_dpp v2, v1 quad_perm:[2,3,0,1] row_mask:0xf bank_mask:0xf
	v_add_u32_e32 v1, v1, v2
	s_nop 1
	v_mov_b32_dpp v2, v1 row_ror:4 row_mask:0xf bank_mask:0xf
	v_add_u32_e32 v1, v1, v2
	s_nop 1
	v_mov_b32_dpp v2, v1 row_ror:8 row_mask:0xf bank_mask:0xf
	v_add_u32_e32 v1, v1, v2
	s_nop 1
	v_mov_b32_dpp v2, v1 row_bcast:15 row_mask:0xf bank_mask:0xf
	v_add_u32_e32 v1, v1, v2
	s_nop 1
	v_mov_b32_dpp v2, v1 row_bcast:31 row_mask:0xf bank_mask:0xf
	v_add_u32_e32 v1, v1, v2
	v_mbcnt_lo_u32_b32 v2, -1, 0
	v_mbcnt_hi_u32_b32 v2, -1, v2
	v_lshl_or_b32 v2, v2, 2, v3
	ds_bpermute_b32 v1, v2, v1
.LBB2_6:
	s_or_b64 exec, exec, s[0:1]
	s_mov_b32 s7, 0
	v_cmp_eq_u32_e32 vcc, 0, v0
	s_and_saveexec_b64 s[0:1], vcc
	s_cbranch_execz .LBB2_8
; %bb.7:
	s_lshl_b64 s[0:1], s[6:7], 2
	s_add_u32 s0, s2, s0
	s_addc_u32 s1, s3, s1
	v_mov_b32_e32 v0, 0
	s_waitcnt lgkmcnt(0)
	global_store_dword v0, v1, s[0:1]
.LBB2_8:
	s_endpgm
	.section	.rodata,"a",@progbits
	.p2align	6, 0x0
	.amdhsa_kernel _Z13reduce_kernelILj255ELN6hipcub20BlockReduceAlgorithmE2EjEvPT1_S3_
		.amdhsa_group_segment_fixed_size 1020
		.amdhsa_private_segment_fixed_size 0
		.amdhsa_kernarg_size 16
		.amdhsa_user_sgpr_count 6
		.amdhsa_user_sgpr_private_segment_buffer 1
		.amdhsa_user_sgpr_dispatch_ptr 0
		.amdhsa_user_sgpr_queue_ptr 0
		.amdhsa_user_sgpr_kernarg_segment_ptr 1
		.amdhsa_user_sgpr_dispatch_id 0
		.amdhsa_user_sgpr_flat_scratch_init 0
		.amdhsa_user_sgpr_private_segment_size 0
		.amdhsa_uses_dynamic_stack 0
		.amdhsa_system_sgpr_private_segment_wavefront_offset 0
		.amdhsa_system_sgpr_workgroup_id_x 1
		.amdhsa_system_sgpr_workgroup_id_y 0
		.amdhsa_system_sgpr_workgroup_id_z 0
		.amdhsa_system_sgpr_workgroup_info 0
		.amdhsa_system_vgpr_workitem_id 0
		.amdhsa_next_free_vgpr 6
		.amdhsa_next_free_sgpr 8
		.amdhsa_reserve_vcc 1
		.amdhsa_reserve_flat_scratch 0
		.amdhsa_float_round_mode_32 0
		.amdhsa_float_round_mode_16_64 0
		.amdhsa_float_denorm_mode_32 3
		.amdhsa_float_denorm_mode_16_64 3
		.amdhsa_dx10_clamp 1
		.amdhsa_ieee_mode 1
		.amdhsa_fp16_overflow 0
		.amdhsa_exception_fp_ieee_invalid_op 0
		.amdhsa_exception_fp_denorm_src 0
		.amdhsa_exception_fp_ieee_div_zero 0
		.amdhsa_exception_fp_ieee_overflow 0
		.amdhsa_exception_fp_ieee_underflow 0
		.amdhsa_exception_fp_ieee_inexact 0
		.amdhsa_exception_int_div_zero 0
	.end_amdhsa_kernel
	.section	.text._Z13reduce_kernelILj255ELN6hipcub20BlockReduceAlgorithmE2EjEvPT1_S3_,"axG",@progbits,_Z13reduce_kernelILj255ELN6hipcub20BlockReduceAlgorithmE2EjEvPT1_S3_,comdat
.Lfunc_end2:
	.size	_Z13reduce_kernelILj255ELN6hipcub20BlockReduceAlgorithmE2EjEvPT1_S3_, .Lfunc_end2-_Z13reduce_kernelILj255ELN6hipcub20BlockReduceAlgorithmE2EjEvPT1_S3_
                                        ; -- End function
	.set _Z13reduce_kernelILj255ELN6hipcub20BlockReduceAlgorithmE2EjEvPT1_S3_.num_vgpr, 6
	.set _Z13reduce_kernelILj255ELN6hipcub20BlockReduceAlgorithmE2EjEvPT1_S3_.num_agpr, 0
	.set _Z13reduce_kernelILj255ELN6hipcub20BlockReduceAlgorithmE2EjEvPT1_S3_.numbered_sgpr, 8
	.set _Z13reduce_kernelILj255ELN6hipcub20BlockReduceAlgorithmE2EjEvPT1_S3_.num_named_barrier, 0
	.set _Z13reduce_kernelILj255ELN6hipcub20BlockReduceAlgorithmE2EjEvPT1_S3_.private_seg_size, 0
	.set _Z13reduce_kernelILj255ELN6hipcub20BlockReduceAlgorithmE2EjEvPT1_S3_.uses_vcc, 1
	.set _Z13reduce_kernelILj255ELN6hipcub20BlockReduceAlgorithmE2EjEvPT1_S3_.uses_flat_scratch, 0
	.set _Z13reduce_kernelILj255ELN6hipcub20BlockReduceAlgorithmE2EjEvPT1_S3_.has_dyn_sized_stack, 0
	.set _Z13reduce_kernelILj255ELN6hipcub20BlockReduceAlgorithmE2EjEvPT1_S3_.has_recursion, 0
	.set _Z13reduce_kernelILj255ELN6hipcub20BlockReduceAlgorithmE2EjEvPT1_S3_.has_indirect_call, 0
	.section	.AMDGPU.csdata,"",@progbits
; Kernel info:
; codeLenInByte = 356
; TotalNumSgprs: 12
; NumVgprs: 6
; ScratchSize: 0
; MemoryBound: 0
; FloatMode: 240
; IeeeMode: 1
; LDSByteSize: 1020 bytes/workgroup (compile time only)
; SGPRBlocks: 1
; VGPRBlocks: 1
; NumSGPRsForWavesPerEU: 12
; NumVGPRsForWavesPerEU: 6
; Occupancy: 10
; WaveLimiterHint : 0
; COMPUTE_PGM_RSRC2:SCRATCH_EN: 0
; COMPUTE_PGM_RSRC2:USER_SGPR: 6
; COMPUTE_PGM_RSRC2:TRAP_HANDLER: 0
; COMPUTE_PGM_RSRC2:TGID_X_EN: 1
; COMPUTE_PGM_RSRC2:TGID_Y_EN: 0
; COMPUTE_PGM_RSRC2:TGID_Z_EN: 0
; COMPUTE_PGM_RSRC2:TIDIG_COMP_CNT: 0
	.section	.text._Z13reduce_kernelILj162ELN6hipcub20BlockReduceAlgorithmE2EsEvPT1_S3_,"axG",@progbits,_Z13reduce_kernelILj162ELN6hipcub20BlockReduceAlgorithmE2EsEvPT1_S3_,comdat
	.protected	_Z13reduce_kernelILj162ELN6hipcub20BlockReduceAlgorithmE2EsEvPT1_S3_ ; -- Begin function _Z13reduce_kernelILj162ELN6hipcub20BlockReduceAlgorithmE2EsEvPT1_S3_
	.globl	_Z13reduce_kernelILj162ELN6hipcub20BlockReduceAlgorithmE2EsEvPT1_S3_
	.p2align	8
	.type	_Z13reduce_kernelILj162ELN6hipcub20BlockReduceAlgorithmE2EsEvPT1_S3_,@function
_Z13reduce_kernelILj162ELN6hipcub20BlockReduceAlgorithmE2EsEvPT1_S3_: ; @_Z13reduce_kernelILj162ELN6hipcub20BlockReduceAlgorithmE2EsEvPT1_S3_
; %bb.0:
	s_load_dwordx4 s[0:3], s[4:5], 0x0
	s_mul_i32 s4, s6, 0xa2
	v_add_u32_e32 v1, s4, v0
	v_mov_b32_e32 v2, 0
	v_lshlrev_b64 v[1:2], 1, v[1:2]
	s_waitcnt lgkmcnt(0)
	v_mov_b32_e32 v3, s1
	v_add_co_u32_e32 v1, vcc, s0, v1
	v_addc_co_u32_e32 v2, vcc, v3, v2, vcc
	global_load_ushort v1, v[1:2], off
	v_cmp_lt_u32_e32 vcc, 63, v0
	v_lshlrev_b32_e32 v2, 1, v0
	s_and_saveexec_b64 s[0:1], vcc
	s_cbranch_execz .LBB3_2
; %bb.1:
	s_waitcnt vmcnt(0)
	ds_write_b16 v2, v1
.LBB3_2:
	s_or_b64 exec, exec, s[0:1]
	v_cmp_gt_u32_e32 vcc, 64, v0
	s_waitcnt vmcnt(0) lgkmcnt(0)
	s_barrier
	s_and_saveexec_b64 s[0:1], vcc
	s_cbranch_execz .LBB3_6
; %bb.3:
	ds_read_u16 v3, v2 offset:128
	v_or_b32_e32 v4, 0x80, v0
	s_movk_i32 s4, 0xa2
	v_cmp_gt_u32_e32 vcc, s4, v4
	s_waitcnt lgkmcnt(0)
	v_add_u16_e32 v1, v3, v1
	s_and_saveexec_b64 s[4:5], vcc
	s_cbranch_execz .LBB3_5
; %bb.4:
	ds_read_u16 v2, v2 offset:256
	s_waitcnt lgkmcnt(0)
	v_add_u16_e32 v1, v2, v1
.LBB3_5:
	s_or_b64 exec, exec, s[4:5]
	v_and_b32_e32 v2, 0xffff, v1
	v_mbcnt_lo_u32_b32 v3, -1, 0
	v_mbcnt_hi_u32_b32 v3, -1, v3
	v_mov_b32_dpp v2, v2 quad_perm:[1,0,3,2] row_mask:0xf bank_mask:0xf
	v_add_u16_e32 v1, v1, v2
	v_bfrev_b32_e32 v4, 0.5
	v_lshl_or_b32 v3, v3, 2, v4
	v_mov_b32_dpp v2, v1 quad_perm:[2,3,0,1] row_mask:0xf bank_mask:0xf
	v_add_u16_e32 v1, v1, v2
	s_nop 1
	v_mov_b32_dpp v2, v1 row_ror:4 row_mask:0xf bank_mask:0xf
	v_add_u16_e32 v1, v1, v2
	s_nop 1
	v_mov_b32_dpp v2, v1 row_ror:8 row_mask:0xf bank_mask:0xf
	v_add_u16_e32 v1, v1, v2
	s_nop 1
	v_mov_b32_dpp v2, v1 row_bcast:15 row_mask:0xf bank_mask:0xf
	v_add_u16_e32 v1, v1, v2
	s_nop 1
	v_mov_b32_dpp v2, v1 row_bcast:31 row_mask:0xf bank_mask:0xf
	v_add_u16_e32 v1, v1, v2
	ds_bpermute_b32 v1, v3, v1
.LBB3_6:
	s_or_b64 exec, exec, s[0:1]
	s_mov_b32 s7, 0
	v_cmp_eq_u32_e32 vcc, 0, v0
	s_and_saveexec_b64 s[0:1], vcc
	s_cbranch_execz .LBB3_8
; %bb.7:
	s_lshl_b64 s[0:1], s[6:7], 1
	s_add_u32 s0, s2, s0
	s_addc_u32 s1, s3, s1
	v_mov_b32_e32 v0, 0
	s_waitcnt lgkmcnt(0)
	global_store_short v0, v1, s[0:1]
.LBB3_8:
	s_endpgm
	.section	.rodata,"a",@progbits
	.p2align	6, 0x0
	.amdhsa_kernel _Z13reduce_kernelILj162ELN6hipcub20BlockReduceAlgorithmE2EsEvPT1_S3_
		.amdhsa_group_segment_fixed_size 324
		.amdhsa_private_segment_fixed_size 0
		.amdhsa_kernarg_size 16
		.amdhsa_user_sgpr_count 6
		.amdhsa_user_sgpr_private_segment_buffer 1
		.amdhsa_user_sgpr_dispatch_ptr 0
		.amdhsa_user_sgpr_queue_ptr 0
		.amdhsa_user_sgpr_kernarg_segment_ptr 1
		.amdhsa_user_sgpr_dispatch_id 0
		.amdhsa_user_sgpr_flat_scratch_init 0
		.amdhsa_user_sgpr_private_segment_size 0
		.amdhsa_uses_dynamic_stack 0
		.amdhsa_system_sgpr_private_segment_wavefront_offset 0
		.amdhsa_system_sgpr_workgroup_id_x 1
		.amdhsa_system_sgpr_workgroup_id_y 0
		.amdhsa_system_sgpr_workgroup_id_z 0
		.amdhsa_system_sgpr_workgroup_info 0
		.amdhsa_system_vgpr_workitem_id 0
		.amdhsa_next_free_vgpr 5
		.amdhsa_next_free_sgpr 8
		.amdhsa_reserve_vcc 1
		.amdhsa_reserve_flat_scratch 0
		.amdhsa_float_round_mode_32 0
		.amdhsa_float_round_mode_16_64 0
		.amdhsa_float_denorm_mode_32 3
		.amdhsa_float_denorm_mode_16_64 3
		.amdhsa_dx10_clamp 1
		.amdhsa_ieee_mode 1
		.amdhsa_fp16_overflow 0
		.amdhsa_exception_fp_ieee_invalid_op 0
		.amdhsa_exception_fp_denorm_src 0
		.amdhsa_exception_fp_ieee_div_zero 0
		.amdhsa_exception_fp_ieee_overflow 0
		.amdhsa_exception_fp_ieee_underflow 0
		.amdhsa_exception_fp_ieee_inexact 0
		.amdhsa_exception_int_div_zero 0
	.end_amdhsa_kernel
	.section	.text._Z13reduce_kernelILj162ELN6hipcub20BlockReduceAlgorithmE2EsEvPT1_S3_,"axG",@progbits,_Z13reduce_kernelILj162ELN6hipcub20BlockReduceAlgorithmE2EsEvPT1_S3_,comdat
.Lfunc_end3:
	.size	_Z13reduce_kernelILj162ELN6hipcub20BlockReduceAlgorithmE2EsEvPT1_S3_, .Lfunc_end3-_Z13reduce_kernelILj162ELN6hipcub20BlockReduceAlgorithmE2EsEvPT1_S3_
                                        ; -- End function
	.set _Z13reduce_kernelILj162ELN6hipcub20BlockReduceAlgorithmE2EsEvPT1_S3_.num_vgpr, 5
	.set _Z13reduce_kernelILj162ELN6hipcub20BlockReduceAlgorithmE2EsEvPT1_S3_.num_agpr, 0
	.set _Z13reduce_kernelILj162ELN6hipcub20BlockReduceAlgorithmE2EsEvPT1_S3_.numbered_sgpr, 8
	.set _Z13reduce_kernelILj162ELN6hipcub20BlockReduceAlgorithmE2EsEvPT1_S3_.num_named_barrier, 0
	.set _Z13reduce_kernelILj162ELN6hipcub20BlockReduceAlgorithmE2EsEvPT1_S3_.private_seg_size, 0
	.set _Z13reduce_kernelILj162ELN6hipcub20BlockReduceAlgorithmE2EsEvPT1_S3_.uses_vcc, 1
	.set _Z13reduce_kernelILj162ELN6hipcub20BlockReduceAlgorithmE2EsEvPT1_S3_.uses_flat_scratch, 0
	.set _Z13reduce_kernelILj162ELN6hipcub20BlockReduceAlgorithmE2EsEvPT1_S3_.has_dyn_sized_stack, 0
	.set _Z13reduce_kernelILj162ELN6hipcub20BlockReduceAlgorithmE2EsEvPT1_S3_.has_recursion, 0
	.set _Z13reduce_kernelILj162ELN6hipcub20BlockReduceAlgorithmE2EsEvPT1_S3_.has_indirect_call, 0
	.section	.AMDGPU.csdata,"",@progbits
; Kernel info:
; codeLenInByte = 352
; TotalNumSgprs: 12
; NumVgprs: 5
; ScratchSize: 0
; MemoryBound: 0
; FloatMode: 240
; IeeeMode: 1
; LDSByteSize: 324 bytes/workgroup (compile time only)
; SGPRBlocks: 1
; VGPRBlocks: 1
; NumSGPRsForWavesPerEU: 12
; NumVGPRsForWavesPerEU: 5
; Occupancy: 10
; WaveLimiterHint : 0
; COMPUTE_PGM_RSRC2:SCRATCH_EN: 0
; COMPUTE_PGM_RSRC2:USER_SGPR: 6
; COMPUTE_PGM_RSRC2:TRAP_HANDLER: 0
; COMPUTE_PGM_RSRC2:TGID_X_EN: 1
; COMPUTE_PGM_RSRC2:TGID_Y_EN: 0
; COMPUTE_PGM_RSRC2:TGID_Z_EN: 0
; COMPUTE_PGM_RSRC2:TIDIG_COMP_CNT: 0
	.section	.text._Z13reduce_kernelILj37ELN6hipcub20BlockReduceAlgorithmE2ElEvPT1_S3_,"axG",@progbits,_Z13reduce_kernelILj37ELN6hipcub20BlockReduceAlgorithmE2ElEvPT1_S3_,comdat
	.protected	_Z13reduce_kernelILj37ELN6hipcub20BlockReduceAlgorithmE2ElEvPT1_S3_ ; -- Begin function _Z13reduce_kernelILj37ELN6hipcub20BlockReduceAlgorithmE2ElEvPT1_S3_
	.globl	_Z13reduce_kernelILj37ELN6hipcub20BlockReduceAlgorithmE2ElEvPT1_S3_
	.p2align	8
	.type	_Z13reduce_kernelILj37ELN6hipcub20BlockReduceAlgorithmE2ElEvPT1_S3_,@function
_Z13reduce_kernelILj37ELN6hipcub20BlockReduceAlgorithmE2ElEvPT1_S3_: ; @_Z13reduce_kernelILj37ELN6hipcub20BlockReduceAlgorithmE2ElEvPT1_S3_
; %bb.0:
	s_load_dwordx4 s[0:3], s[4:5], 0x0
	v_mad_u64_u32 v[1:2], s[4:5], s6, 37, v[0:1]
	v_mov_b32_e32 v2, 0
	v_lshlrev_b64 v[1:2], 3, v[1:2]
	s_waitcnt lgkmcnt(0)
	v_mov_b32_e32 v3, s1
	v_add_co_u32_e32 v1, vcc, s0, v1
	v_addc_co_u32_e32 v2, vcc, v3, v2, vcc
	global_load_dwordx2 v[1:2], v[1:2], off
	v_cmp_lt_u32_e32 vcc, 63, v0
	s_and_saveexec_b64 s[0:1], vcc
	s_cbranch_execz .LBB4_2
; %bb.1:
	v_lshlrev_b32_e32 v3, 2, v0
	s_waitcnt vmcnt(0)
	ds_write2_b32 v3, v1, v2 offset1:37
.LBB4_2:
	s_or_b64 exec, exec, s[0:1]
	v_cmp_gt_u32_e32 vcc, 64, v0
	s_waitcnt lgkmcnt(0)
	; wave barrier
	s_and_saveexec_b64 s[0:1], vcc
	s_cbranch_execz .LBB4_14
; %bb.3:
	v_mbcnt_lo_u32_b32 v3, -1, 0
	v_mbcnt_hi_u32_b32 v3, -1, v3
	v_and_b32_e32 v5, 63, v3
	v_cmp_ne_u32_e32 vcc, 63, v5
	v_addc_co_u32_e32 v4, vcc, 0, v3, vcc
	v_lshlrev_b32_e32 v4, 2, v4
	s_waitcnt vmcnt(0)
	ds_bpermute_b32 v7, v4, v1
	ds_bpermute_b32 v6, v4, v2
	v_add_u32_e32 v4, 1, v3
	v_cmp_gt_u32_e32 vcc, 37, v4
	v_mov_b32_e32 v4, v1
	s_and_saveexec_b64 s[4:5], vcc
	s_cbranch_execz .LBB4_5
; %bb.4:
	s_waitcnt lgkmcnt(1)
	v_add_co_u32_e32 v4, vcc, v1, v7
	v_addc_co_u32_e32 v2, vcc, 0, v2, vcc
	v_add_co_u32_e32 v1, vcc, 0, v4
	s_waitcnt lgkmcnt(0)
	v_addc_co_u32_e32 v2, vcc, v6, v2, vcc
.LBB4_5:
	s_or_b64 exec, exec, s[4:5]
	v_cmp_gt_u32_e32 vcc, 62, v5
	s_waitcnt lgkmcnt(0)
	v_cndmask_b32_e64 v6, 0, 2, vcc
	v_add_lshl_u32 v6, v6, v3, 2
	ds_bpermute_b32 v7, v6, v4
	ds_bpermute_b32 v6, v6, v2
	v_add_u32_e32 v8, 2, v3
	v_cmp_gt_u32_e32 vcc, 37, v8
	s_and_saveexec_b64 s[4:5], vcc
	s_cbranch_execz .LBB4_7
; %bb.6:
	s_waitcnt lgkmcnt(1)
	v_add_co_u32_e32 v4, vcc, v1, v7
	v_addc_co_u32_e32 v2, vcc, 0, v2, vcc
	v_add_co_u32_e32 v1, vcc, 0, v4
	s_waitcnt lgkmcnt(0)
	v_addc_co_u32_e32 v2, vcc, v6, v2, vcc
.LBB4_7:
	s_or_b64 exec, exec, s[4:5]
	v_cmp_gt_u32_e32 vcc, 60, v5
	s_waitcnt lgkmcnt(0)
	v_cndmask_b32_e64 v6, 0, 4, vcc
	v_add_lshl_u32 v6, v6, v3, 2
	ds_bpermute_b32 v7, v6, v4
	ds_bpermute_b32 v6, v6, v2
	v_add_u32_e32 v8, 4, v3
	v_cmp_gt_u32_e32 vcc, 37, v8
	;; [unrolled: 19-line block ×3, first 2 shown]
	s_and_saveexec_b64 s[4:5], vcc
	s_cbranch_execz .LBB4_11
; %bb.10:
	s_waitcnt lgkmcnt(1)
	v_add_co_u32_e32 v4, vcc, v1, v7
	v_addc_co_u32_e32 v2, vcc, 0, v2, vcc
	v_add_co_u32_e32 v1, vcc, 0, v4
	s_waitcnt lgkmcnt(0)
	v_addc_co_u32_e32 v2, vcc, v6, v2, vcc
.LBB4_11:
	s_or_b64 exec, exec, s[4:5]
	v_cmp_gt_u32_e32 vcc, 48, v5
	v_cndmask_b32_e64 v5, 0, 16, vcc
	v_add_lshl_u32 v5, v5, v3, 2
	s_waitcnt lgkmcnt(0)
	ds_bpermute_b32 v6, v5, v4
	ds_bpermute_b32 v5, v5, v2
	v_add_u32_e32 v7, 16, v3
	v_cmp_gt_u32_e32 vcc, 37, v7
	s_and_saveexec_b64 s[4:5], vcc
	s_cbranch_execz .LBB4_13
; %bb.12:
	s_waitcnt lgkmcnt(1)
	v_add_co_u32_e32 v4, vcc, v1, v6
	v_addc_co_u32_e32 v2, vcc, 0, v2, vcc
	v_add_co_u32_e32 v1, vcc, 0, v4
	s_waitcnt lgkmcnt(0)
	v_addc_co_u32_e32 v2, vcc, v5, v2, vcc
.LBB4_13:
	s_or_b64 exec, exec, s[4:5]
	s_waitcnt lgkmcnt(0)
	v_mov_b32_e32 v5, 0x80
	v_lshl_or_b32 v5, v3, 2, v5
	ds_bpermute_b32 v4, v5, v4
	ds_bpermute_b32 v5, v5, v2
	v_add_u32_e32 v3, 32, v3
	s_waitcnt lgkmcnt(1)
	v_add_co_u32_e32 v4, vcc, v1, v4
	v_addc_co_u32_e32 v6, vcc, 0, v2, vcc
	v_add_co_u32_e32 v4, vcc, 0, v4
	s_waitcnt lgkmcnt(0)
	v_addc_co_u32_e32 v5, vcc, v6, v5, vcc
	v_cmp_gt_u32_e32 vcc, 37, v3
	v_cndmask_b32_e32 v2, v2, v5, vcc
	v_cndmask_b32_e32 v1, v1, v4, vcc
.LBB4_14:
	s_or_b64 exec, exec, s[0:1]
	s_mov_b32 s7, 0
	v_cmp_eq_u32_e32 vcc, 0, v0
	s_and_saveexec_b64 s[0:1], vcc
	s_cbranch_execz .LBB4_16
; %bb.15:
	s_lshl_b64 s[0:1], s[6:7], 3
	s_add_u32 s0, s2, s0
	s_addc_u32 s1, s3, s1
	v_mov_b32_e32 v0, 0
	s_waitcnt vmcnt(0)
	global_store_dwordx2 v0, v[1:2], s[0:1]
.LBB4_16:
	s_endpgm
	.section	.rodata,"a",@progbits
	.p2align	6, 0x0
	.amdhsa_kernel _Z13reduce_kernelILj37ELN6hipcub20BlockReduceAlgorithmE2ElEvPT1_S3_
		.amdhsa_group_segment_fixed_size 296
		.amdhsa_private_segment_fixed_size 0
		.amdhsa_kernarg_size 16
		.amdhsa_user_sgpr_count 6
		.amdhsa_user_sgpr_private_segment_buffer 1
		.amdhsa_user_sgpr_dispatch_ptr 0
		.amdhsa_user_sgpr_queue_ptr 0
		.amdhsa_user_sgpr_kernarg_segment_ptr 1
		.amdhsa_user_sgpr_dispatch_id 0
		.amdhsa_user_sgpr_flat_scratch_init 0
		.amdhsa_user_sgpr_private_segment_size 0
		.amdhsa_uses_dynamic_stack 0
		.amdhsa_system_sgpr_private_segment_wavefront_offset 0
		.amdhsa_system_sgpr_workgroup_id_x 1
		.amdhsa_system_sgpr_workgroup_id_y 0
		.amdhsa_system_sgpr_workgroup_id_z 0
		.amdhsa_system_sgpr_workgroup_info 0
		.amdhsa_system_vgpr_workitem_id 0
		.amdhsa_next_free_vgpr 9
		.amdhsa_next_free_sgpr 8
		.amdhsa_reserve_vcc 1
		.amdhsa_reserve_flat_scratch 0
		.amdhsa_float_round_mode_32 0
		.amdhsa_float_round_mode_16_64 0
		.amdhsa_float_denorm_mode_32 3
		.amdhsa_float_denorm_mode_16_64 3
		.amdhsa_dx10_clamp 1
		.amdhsa_ieee_mode 1
		.amdhsa_fp16_overflow 0
		.amdhsa_exception_fp_ieee_invalid_op 0
		.amdhsa_exception_fp_denorm_src 0
		.amdhsa_exception_fp_ieee_div_zero 0
		.amdhsa_exception_fp_ieee_overflow 0
		.amdhsa_exception_fp_ieee_underflow 0
		.amdhsa_exception_fp_ieee_inexact 0
		.amdhsa_exception_int_div_zero 0
	.end_amdhsa_kernel
	.section	.text._Z13reduce_kernelILj37ELN6hipcub20BlockReduceAlgorithmE2ElEvPT1_S3_,"axG",@progbits,_Z13reduce_kernelILj37ELN6hipcub20BlockReduceAlgorithmE2ElEvPT1_S3_,comdat
.Lfunc_end4:
	.size	_Z13reduce_kernelILj37ELN6hipcub20BlockReduceAlgorithmE2ElEvPT1_S3_, .Lfunc_end4-_Z13reduce_kernelILj37ELN6hipcub20BlockReduceAlgorithmE2ElEvPT1_S3_
                                        ; -- End function
	.set _Z13reduce_kernelILj37ELN6hipcub20BlockReduceAlgorithmE2ElEvPT1_S3_.num_vgpr, 9
	.set _Z13reduce_kernelILj37ELN6hipcub20BlockReduceAlgorithmE2ElEvPT1_S3_.num_agpr, 0
	.set _Z13reduce_kernelILj37ELN6hipcub20BlockReduceAlgorithmE2ElEvPT1_S3_.numbered_sgpr, 8
	.set _Z13reduce_kernelILj37ELN6hipcub20BlockReduceAlgorithmE2ElEvPT1_S3_.num_named_barrier, 0
	.set _Z13reduce_kernelILj37ELN6hipcub20BlockReduceAlgorithmE2ElEvPT1_S3_.private_seg_size, 0
	.set _Z13reduce_kernelILj37ELN6hipcub20BlockReduceAlgorithmE2ElEvPT1_S3_.uses_vcc, 1
	.set _Z13reduce_kernelILj37ELN6hipcub20BlockReduceAlgorithmE2ElEvPT1_S3_.uses_flat_scratch, 0
	.set _Z13reduce_kernelILj37ELN6hipcub20BlockReduceAlgorithmE2ElEvPT1_S3_.has_dyn_sized_stack, 0
	.set _Z13reduce_kernelILj37ELN6hipcub20BlockReduceAlgorithmE2ElEvPT1_S3_.has_recursion, 0
	.set _Z13reduce_kernelILj37ELN6hipcub20BlockReduceAlgorithmE2ElEvPT1_S3_.has_indirect_call, 0
	.section	.AMDGPU.csdata,"",@progbits
; Kernel info:
; codeLenInByte = 664
; TotalNumSgprs: 12
; NumVgprs: 9
; ScratchSize: 0
; MemoryBound: 0
; FloatMode: 240
; IeeeMode: 1
; LDSByteSize: 296 bytes/workgroup (compile time only)
; SGPRBlocks: 1
; VGPRBlocks: 2
; NumSGPRsForWavesPerEU: 12
; NumVGPRsForWavesPerEU: 9
; Occupancy: 10
; WaveLimiterHint : 0
; COMPUTE_PGM_RSRC2:SCRATCH_EN: 0
; COMPUTE_PGM_RSRC2:USER_SGPR: 6
; COMPUTE_PGM_RSRC2:TRAP_HANDLER: 0
; COMPUTE_PGM_RSRC2:TGID_X_EN: 1
; COMPUTE_PGM_RSRC2:TGID_Y_EN: 0
; COMPUTE_PGM_RSRC2:TGID_Z_EN: 0
; COMPUTE_PGM_RSRC2:TIDIG_COMP_CNT: 0
	.section	.text._Z13reduce_kernelILj65ELN6hipcub20BlockReduceAlgorithmE2EmEvPT1_S3_,"axG",@progbits,_Z13reduce_kernelILj65ELN6hipcub20BlockReduceAlgorithmE2EmEvPT1_S3_,comdat
	.protected	_Z13reduce_kernelILj65ELN6hipcub20BlockReduceAlgorithmE2EmEvPT1_S3_ ; -- Begin function _Z13reduce_kernelILj65ELN6hipcub20BlockReduceAlgorithmE2EmEvPT1_S3_
	.globl	_Z13reduce_kernelILj65ELN6hipcub20BlockReduceAlgorithmE2EmEvPT1_S3_
	.p2align	8
	.type	_Z13reduce_kernelILj65ELN6hipcub20BlockReduceAlgorithmE2EmEvPT1_S3_,@function
_Z13reduce_kernelILj65ELN6hipcub20BlockReduceAlgorithmE2EmEvPT1_S3_: ; @_Z13reduce_kernelILj65ELN6hipcub20BlockReduceAlgorithmE2EmEvPT1_S3_
; %bb.0:
	s_load_dwordx4 s[0:3], s[4:5], 0x0
	s_mul_i32 s4, s6, 0x41
	v_add_u32_e32 v1, s4, v0
	v_mov_b32_e32 v2, 0
	v_lshlrev_b64 v[1:2], 3, v[1:2]
	s_waitcnt lgkmcnt(0)
	v_mov_b32_e32 v3, s1
	v_add_co_u32_e32 v1, vcc, s0, v1
	v_addc_co_u32_e32 v2, vcc, v3, v2, vcc
	global_load_dwordx2 v[1:2], v[1:2], off
	v_cmp_lt_u32_e32 vcc, 63, v0
	s_and_saveexec_b64 s[0:1], vcc
	s_cbranch_execz .LBB5_2
; %bb.1:
	v_lshlrev_b32_e32 v3, 2, v0
	s_waitcnt vmcnt(0)
	ds_write2_b32 v3, v1, v2 offset1:65
.LBB5_2:
	s_or_b64 exec, exec, s[0:1]
	v_cmp_gt_u32_e32 vcc, 64, v0
	s_waitcnt vmcnt(0) lgkmcnt(0)
	s_barrier
	s_and_saveexec_b64 s[0:1], vcc
	s_cbranch_execz .LBB5_6
; %bb.3:
	v_cmp_eq_u32_e32 vcc, 0, v0
	s_and_saveexec_b64 s[4:5], vcc
	s_cbranch_execz .LBB5_5
; %bb.4:
	v_mov_b32_e32 v3, 0
	ds_read2_b32 v[3:4], v3 offset0:64 offset1:129
	s_waitcnt lgkmcnt(0)
	v_add_co_u32_e32 v1, vcc, v3, v1
	v_addc_co_u32_e32 v2, vcc, v4, v2, vcc
.LBB5_5:
	s_or_b64 exec, exec, s[4:5]
	v_mov_b32_dpp v3, v1 quad_perm:[1,0,3,2] row_mask:0xf bank_mask:0xf
	v_add_co_u32_e32 v1, vcc, v1, v3
	v_mov_b32_dpp v4, v2 quad_perm:[1,0,3,2] row_mask:0xf bank_mask:0xf
	v_addc_co_u32_e32 v2, vcc, 0, v2, vcc
	v_add_co_u32_e32 v3, vcc, 0, v1
	v_addc_co_u32_e32 v2, vcc, v4, v2, vcc
	v_mov_b32_dpp v1, v1 quad_perm:[2,3,0,1] row_mask:0xf bank_mask:0xf
	v_add_co_u32_e32 v1, vcc, v3, v1
	v_mov_b32_dpp v4, v2 quad_perm:[2,3,0,1] row_mask:0xf bank_mask:0xf
	v_addc_co_u32_e32 v2, vcc, 0, v2, vcc
	v_add_co_u32_e32 v3, vcc, 0, v1
	v_addc_co_u32_e32 v2, vcc, v2, v4, vcc
	v_mov_b32_dpp v1, v1 row_ror:4 row_mask:0xf bank_mask:0xf
	v_add_co_u32_e32 v1, vcc, v3, v1
	v_mov_b32_dpp v4, v2 row_ror:4 row_mask:0xf bank_mask:0xf
	v_addc_co_u32_e32 v2, vcc, 0, v2, vcc
	v_add_co_u32_e32 v3, vcc, 0, v1
	v_addc_co_u32_e32 v2, vcc, v2, v4, vcc
	v_mov_b32_dpp v1, v1 row_ror:8 row_mask:0xf bank_mask:0xf
	v_add_co_u32_e32 v1, vcc, v3, v1
	v_mov_b32_dpp v4, v2 row_ror:8 row_mask:0xf bank_mask:0xf
	v_addc_co_u32_e32 v2, vcc, 0, v2, vcc
	v_add_co_u32_e32 v3, vcc, 0, v1
	v_addc_co_u32_e32 v2, vcc, v2, v4, vcc
	v_mov_b32_dpp v1, v1 row_bcast:15 row_mask:0xf bank_mask:0xf
	v_add_co_u32_e32 v1, vcc, v3, v1
	v_mov_b32_dpp v4, v2 row_bcast:15 row_mask:0xf bank_mask:0xf
	v_addc_co_u32_e32 v2, vcc, 0, v2, vcc
	v_add_co_u32_e32 v3, vcc, 0, v1
	v_addc_co_u32_e32 v2, vcc, v2, v4, vcc
	v_mov_b32_dpp v1, v1 row_bcast:31 row_mask:0xf bank_mask:0xf
	v_add_co_u32_e32 v1, vcc, v3, v1
	v_mov_b32_dpp v4, v2 row_bcast:31 row_mask:0xf bank_mask:0xf
	v_addc_co_u32_e32 v2, vcc, 0, v2, vcc
	v_mbcnt_lo_u32_b32 v3, -1, 0
	v_add_u32_e32 v2, v4, v2
	v_mbcnt_hi_u32_b32 v3, -1, v3
	v_bfrev_b32_e32 v4, 0.5
	v_lshl_or_b32 v3, v3, 2, v4
	ds_bpermute_b32 v1, v3, v1
	ds_bpermute_b32 v2, v3, v2
.LBB5_6:
	s_or_b64 exec, exec, s[0:1]
	s_mov_b32 s7, 0
	v_cmp_eq_u32_e32 vcc, 0, v0
	s_and_saveexec_b64 s[0:1], vcc
	s_cbranch_execz .LBB5_8
; %bb.7:
	s_lshl_b64 s[0:1], s[6:7], 3
	s_add_u32 s0, s2, s0
	s_addc_u32 s1, s3, s1
	v_mov_b32_e32 v0, 0
	s_waitcnt lgkmcnt(0)
	global_store_dwordx2 v0, v[1:2], s[0:1]
.LBB5_8:
	s_endpgm
	.section	.rodata,"a",@progbits
	.p2align	6, 0x0
	.amdhsa_kernel _Z13reduce_kernelILj65ELN6hipcub20BlockReduceAlgorithmE2EmEvPT1_S3_
		.amdhsa_group_segment_fixed_size 520
		.amdhsa_private_segment_fixed_size 0
		.amdhsa_kernarg_size 16
		.amdhsa_user_sgpr_count 6
		.amdhsa_user_sgpr_private_segment_buffer 1
		.amdhsa_user_sgpr_dispatch_ptr 0
		.amdhsa_user_sgpr_queue_ptr 0
		.amdhsa_user_sgpr_kernarg_segment_ptr 1
		.amdhsa_user_sgpr_dispatch_id 0
		.amdhsa_user_sgpr_flat_scratch_init 0
		.amdhsa_user_sgpr_private_segment_size 0
		.amdhsa_uses_dynamic_stack 0
		.amdhsa_system_sgpr_private_segment_wavefront_offset 0
		.amdhsa_system_sgpr_workgroup_id_x 1
		.amdhsa_system_sgpr_workgroup_id_y 0
		.amdhsa_system_sgpr_workgroup_id_z 0
		.amdhsa_system_sgpr_workgroup_info 0
		.amdhsa_system_vgpr_workitem_id 0
		.amdhsa_next_free_vgpr 5
		.amdhsa_next_free_sgpr 8
		.amdhsa_reserve_vcc 1
		.amdhsa_reserve_flat_scratch 0
		.amdhsa_float_round_mode_32 0
		.amdhsa_float_round_mode_16_64 0
		.amdhsa_float_denorm_mode_32 3
		.amdhsa_float_denorm_mode_16_64 3
		.amdhsa_dx10_clamp 1
		.amdhsa_ieee_mode 1
		.amdhsa_fp16_overflow 0
		.amdhsa_exception_fp_ieee_invalid_op 0
		.amdhsa_exception_fp_denorm_src 0
		.amdhsa_exception_fp_ieee_div_zero 0
		.amdhsa_exception_fp_ieee_overflow 0
		.amdhsa_exception_fp_ieee_underflow 0
		.amdhsa_exception_fp_ieee_inexact 0
		.amdhsa_exception_int_div_zero 0
	.end_amdhsa_kernel
	.section	.text._Z13reduce_kernelILj65ELN6hipcub20BlockReduceAlgorithmE2EmEvPT1_S3_,"axG",@progbits,_Z13reduce_kernelILj65ELN6hipcub20BlockReduceAlgorithmE2EmEvPT1_S3_,comdat
.Lfunc_end5:
	.size	_Z13reduce_kernelILj65ELN6hipcub20BlockReduceAlgorithmE2EmEvPT1_S3_, .Lfunc_end5-_Z13reduce_kernelILj65ELN6hipcub20BlockReduceAlgorithmE2EmEvPT1_S3_
                                        ; -- End function
	.set _Z13reduce_kernelILj65ELN6hipcub20BlockReduceAlgorithmE2EmEvPT1_S3_.num_vgpr, 5
	.set _Z13reduce_kernelILj65ELN6hipcub20BlockReduceAlgorithmE2EmEvPT1_S3_.num_agpr, 0
	.set _Z13reduce_kernelILj65ELN6hipcub20BlockReduceAlgorithmE2EmEvPT1_S3_.numbered_sgpr, 8
	.set _Z13reduce_kernelILj65ELN6hipcub20BlockReduceAlgorithmE2EmEvPT1_S3_.num_named_barrier, 0
	.set _Z13reduce_kernelILj65ELN6hipcub20BlockReduceAlgorithmE2EmEvPT1_S3_.private_seg_size, 0
	.set _Z13reduce_kernelILj65ELN6hipcub20BlockReduceAlgorithmE2EmEvPT1_S3_.uses_vcc, 1
	.set _Z13reduce_kernelILj65ELN6hipcub20BlockReduceAlgorithmE2EmEvPT1_S3_.uses_flat_scratch, 0
	.set _Z13reduce_kernelILj65ELN6hipcub20BlockReduceAlgorithmE2EmEvPT1_S3_.has_dyn_sized_stack, 0
	.set _Z13reduce_kernelILj65ELN6hipcub20BlockReduceAlgorithmE2EmEvPT1_S3_.has_recursion, 0
	.set _Z13reduce_kernelILj65ELN6hipcub20BlockReduceAlgorithmE2EmEvPT1_S3_.has_indirect_call, 0
	.section	.AMDGPU.csdata,"",@progbits
; Kernel info:
; codeLenInByte = 432
; TotalNumSgprs: 12
; NumVgprs: 5
; ScratchSize: 0
; MemoryBound: 0
; FloatMode: 240
; IeeeMode: 1
; LDSByteSize: 520 bytes/workgroup (compile time only)
; SGPRBlocks: 1
; VGPRBlocks: 1
; NumSGPRsForWavesPerEU: 12
; NumVGPRsForWavesPerEU: 5
; Occupancy: 10
; WaveLimiterHint : 0
; COMPUTE_PGM_RSRC2:SCRATCH_EN: 0
; COMPUTE_PGM_RSRC2:USER_SGPR: 6
; COMPUTE_PGM_RSRC2:TRAP_HANDLER: 0
; COMPUTE_PGM_RSRC2:TGID_X_EN: 1
; COMPUTE_PGM_RSRC2:TGID_Y_EN: 0
; COMPUTE_PGM_RSRC2:TGID_Z_EN: 0
; COMPUTE_PGM_RSRC2:TIDIG_COMP_CNT: 0
	.section	.text._Z13reduce_kernelILj1024ELN6hipcub20BlockReduceAlgorithmE2EiEvPT1_S3_,"axG",@progbits,_Z13reduce_kernelILj1024ELN6hipcub20BlockReduceAlgorithmE2EiEvPT1_S3_,comdat
	.protected	_Z13reduce_kernelILj1024ELN6hipcub20BlockReduceAlgorithmE2EiEvPT1_S3_ ; -- Begin function _Z13reduce_kernelILj1024ELN6hipcub20BlockReduceAlgorithmE2EiEvPT1_S3_
	.globl	_Z13reduce_kernelILj1024ELN6hipcub20BlockReduceAlgorithmE2EiEvPT1_S3_
	.p2align	8
	.type	_Z13reduce_kernelILj1024ELN6hipcub20BlockReduceAlgorithmE2EiEvPT1_S3_,@function
_Z13reduce_kernelILj1024ELN6hipcub20BlockReduceAlgorithmE2EiEvPT1_S3_: ; @_Z13reduce_kernelILj1024ELN6hipcub20BlockReduceAlgorithmE2EiEvPT1_S3_
; %bb.0:
	s_load_dwordx4 s[0:3], s[4:5], 0x0
	v_lshl_or_b32 v1, s6, 10, v0
	v_mov_b32_e32 v2, 0
	v_lshlrev_b64 v[1:2], 2, v[1:2]
	s_waitcnt lgkmcnt(0)
	v_mov_b32_e32 v3, s1
	v_add_co_u32_e32 v1, vcc, s0, v1
	v_addc_co_u32_e32 v2, vcc, v3, v2, vcc
	global_load_dword v1, v[1:2], off
	v_cmp_lt_u32_e32 vcc, 63, v0
	v_lshlrev_b32_e32 v2, 2, v0
	s_and_saveexec_b64 s[0:1], vcc
	s_cbranch_execz .LBB6_2
; %bb.1:
	s_waitcnt vmcnt(0)
	ds_write_b32 v2, v1
.LBB6_2:
	s_or_b64 exec, exec, s[0:1]
	v_cmp_gt_u32_e32 vcc, 64, v0
	s_waitcnt vmcnt(0) lgkmcnt(0)
	s_barrier
	s_and_saveexec_b64 s[0:1], vcc
	s_cbranch_execz .LBB6_4
; %bb.3:
	ds_read2st64_b32 v[3:4], v2 offset0:1 offset1:2
	ds_read2st64_b32 v[5:6], v2 offset0:3 offset1:4
	;; [unrolled: 1-line block ×4, first 2 shown]
	s_waitcnt lgkmcnt(3)
	v_add_u32_e32 v1, v3, v1
	s_waitcnt lgkmcnt(2)
	v_add3_u32 v1, v1, v4, v5
	s_waitcnt lgkmcnt(1)
	v_add3_u32 v1, v1, v6, v7
	ds_read2st64_b32 v[3:4], v2 offset0:9 offset1:10
	ds_read2st64_b32 v[5:6], v2 offset0:11 offset1:12
	;; [unrolled: 1-line block ×3, first 2 shown]
	ds_read_b32 v2, v2 offset:3840
	s_waitcnt lgkmcnt(4)
	v_add3_u32 v1, v1, v8, v9
	s_waitcnt lgkmcnt(3)
	v_add3_u32 v1, v1, v10, v3
	;; [unrolled: 2-line block ×5, first 2 shown]
	v_bfrev_b32_e32 v3, 0.5
	s_nop 0
	v_mov_b32_dpp v2, v1 quad_perm:[1,0,3,2] row_mask:0xf bank_mask:0xf
	v_add_u32_e32 v1, v2, v1
	s_nop 1
	v_mov_b32_dpp v2, v1 quad_perm:[2,3,0,1] row_mask:0xf bank_mask:0xf
	v_add_u32_e32 v1, v1, v2
	s_nop 1
	v_mov_b32_dpp v2, v1 row_ror:4 row_mask:0xf bank_mask:0xf
	v_add_u32_e32 v1, v1, v2
	s_nop 1
	v_mov_b32_dpp v2, v1 row_ror:8 row_mask:0xf bank_mask:0xf
	v_add_u32_e32 v1, v1, v2
	s_nop 1
	v_mov_b32_dpp v2, v1 row_bcast:15 row_mask:0xf bank_mask:0xf
	v_add_u32_e32 v1, v1, v2
	s_nop 1
	v_mov_b32_dpp v2, v1 row_bcast:31 row_mask:0xf bank_mask:0xf
	v_add_u32_e32 v1, v1, v2
	v_mbcnt_lo_u32_b32 v2, -1, 0
	v_mbcnt_hi_u32_b32 v2, -1, v2
	v_lshl_or_b32 v2, v2, 2, v3
	ds_bpermute_b32 v1, v2, v1
.LBB6_4:
	s_or_b64 exec, exec, s[0:1]
	s_mov_b32 s7, 0
	v_cmp_eq_u32_e32 vcc, 0, v0
	s_and_saveexec_b64 s[0:1], vcc
	s_cbranch_execz .LBB6_6
; %bb.5:
	s_lshl_b64 s[0:1], s[6:7], 2
	s_add_u32 s0, s2, s0
	s_addc_u32 s1, s3, s1
	v_mov_b32_e32 v0, 0
	s_waitcnt lgkmcnt(0)
	global_store_dword v0, v1, s[0:1]
.LBB6_6:
	s_endpgm
	.section	.rodata,"a",@progbits
	.p2align	6, 0x0
	.amdhsa_kernel _Z13reduce_kernelILj1024ELN6hipcub20BlockReduceAlgorithmE2EiEvPT1_S3_
		.amdhsa_group_segment_fixed_size 4096
		.amdhsa_private_segment_fixed_size 0
		.amdhsa_kernarg_size 16
		.amdhsa_user_sgpr_count 6
		.amdhsa_user_sgpr_private_segment_buffer 1
		.amdhsa_user_sgpr_dispatch_ptr 0
		.amdhsa_user_sgpr_queue_ptr 0
		.amdhsa_user_sgpr_kernarg_segment_ptr 1
		.amdhsa_user_sgpr_dispatch_id 0
		.amdhsa_user_sgpr_flat_scratch_init 0
		.amdhsa_user_sgpr_private_segment_size 0
		.amdhsa_uses_dynamic_stack 0
		.amdhsa_system_sgpr_private_segment_wavefront_offset 0
		.amdhsa_system_sgpr_workgroup_id_x 1
		.amdhsa_system_sgpr_workgroup_id_y 0
		.amdhsa_system_sgpr_workgroup_id_z 0
		.amdhsa_system_sgpr_workgroup_info 0
		.amdhsa_system_vgpr_workitem_id 0
		.amdhsa_next_free_vgpr 29
		.amdhsa_next_free_sgpr 61
		.amdhsa_reserve_vcc 1
		.amdhsa_reserve_flat_scratch 0
		.amdhsa_float_round_mode_32 0
		.amdhsa_float_round_mode_16_64 0
		.amdhsa_float_denorm_mode_32 3
		.amdhsa_float_denorm_mode_16_64 3
		.amdhsa_dx10_clamp 1
		.amdhsa_ieee_mode 1
		.amdhsa_fp16_overflow 0
		.amdhsa_exception_fp_ieee_invalid_op 0
		.amdhsa_exception_fp_denorm_src 0
		.amdhsa_exception_fp_ieee_div_zero 0
		.amdhsa_exception_fp_ieee_overflow 0
		.amdhsa_exception_fp_ieee_underflow 0
		.amdhsa_exception_fp_ieee_inexact 0
		.amdhsa_exception_int_div_zero 0
	.end_amdhsa_kernel
	.section	.text._Z13reduce_kernelILj1024ELN6hipcub20BlockReduceAlgorithmE2EiEvPT1_S3_,"axG",@progbits,_Z13reduce_kernelILj1024ELN6hipcub20BlockReduceAlgorithmE2EiEvPT1_S3_,comdat
.Lfunc_end6:
	.size	_Z13reduce_kernelILj1024ELN6hipcub20BlockReduceAlgorithmE2EiEvPT1_S3_, .Lfunc_end6-_Z13reduce_kernelILj1024ELN6hipcub20BlockReduceAlgorithmE2EiEvPT1_S3_
                                        ; -- End function
	.set _Z13reduce_kernelILj1024ELN6hipcub20BlockReduceAlgorithmE2EiEvPT1_S3_.num_vgpr, 13
	.set _Z13reduce_kernelILj1024ELN6hipcub20BlockReduceAlgorithmE2EiEvPT1_S3_.num_agpr, 0
	.set _Z13reduce_kernelILj1024ELN6hipcub20BlockReduceAlgorithmE2EiEvPT1_S3_.numbered_sgpr, 8
	.set _Z13reduce_kernelILj1024ELN6hipcub20BlockReduceAlgorithmE2EiEvPT1_S3_.num_named_barrier, 0
	.set _Z13reduce_kernelILj1024ELN6hipcub20BlockReduceAlgorithmE2EiEvPT1_S3_.private_seg_size, 0
	.set _Z13reduce_kernelILj1024ELN6hipcub20BlockReduceAlgorithmE2EiEvPT1_S3_.uses_vcc, 1
	.set _Z13reduce_kernelILj1024ELN6hipcub20BlockReduceAlgorithmE2EiEvPT1_S3_.uses_flat_scratch, 0
	.set _Z13reduce_kernelILj1024ELN6hipcub20BlockReduceAlgorithmE2EiEvPT1_S3_.has_dyn_sized_stack, 0
	.set _Z13reduce_kernelILj1024ELN6hipcub20BlockReduceAlgorithmE2EiEvPT1_S3_.has_recursion, 0
	.set _Z13reduce_kernelILj1024ELN6hipcub20BlockReduceAlgorithmE2EiEvPT1_S3_.has_indirect_call, 0
	.section	.AMDGPU.csdata,"",@progbits
; Kernel info:
; codeLenInByte = 444
; TotalNumSgprs: 12
; NumVgprs: 13
; ScratchSize: 0
; MemoryBound: 0
; FloatMode: 240
; IeeeMode: 1
; LDSByteSize: 4096 bytes/workgroup (compile time only)
; SGPRBlocks: 8
; VGPRBlocks: 7
; NumSGPRsForWavesPerEU: 65
; NumVGPRsForWavesPerEU: 29
; Occupancy: 8
; WaveLimiterHint : 0
; COMPUTE_PGM_RSRC2:SCRATCH_EN: 0
; COMPUTE_PGM_RSRC2:USER_SGPR: 6
; COMPUTE_PGM_RSRC2:TRAP_HANDLER: 0
; COMPUTE_PGM_RSRC2:TGID_X_EN: 1
; COMPUTE_PGM_RSRC2:TGID_Y_EN: 0
; COMPUTE_PGM_RSRC2:TGID_Z_EN: 0
; COMPUTE_PGM_RSRC2:TIDIG_COMP_CNT: 0
	.section	.text._Z13reduce_kernelILj512ELN6hipcub20BlockReduceAlgorithmE2EiEvPT1_S3_,"axG",@progbits,_Z13reduce_kernelILj512ELN6hipcub20BlockReduceAlgorithmE2EiEvPT1_S3_,comdat
	.protected	_Z13reduce_kernelILj512ELN6hipcub20BlockReduceAlgorithmE2EiEvPT1_S3_ ; -- Begin function _Z13reduce_kernelILj512ELN6hipcub20BlockReduceAlgorithmE2EiEvPT1_S3_
	.globl	_Z13reduce_kernelILj512ELN6hipcub20BlockReduceAlgorithmE2EiEvPT1_S3_
	.p2align	8
	.type	_Z13reduce_kernelILj512ELN6hipcub20BlockReduceAlgorithmE2EiEvPT1_S3_,@function
_Z13reduce_kernelILj512ELN6hipcub20BlockReduceAlgorithmE2EiEvPT1_S3_: ; @_Z13reduce_kernelILj512ELN6hipcub20BlockReduceAlgorithmE2EiEvPT1_S3_
; %bb.0:
	s_load_dwordx4 s[0:3], s[4:5], 0x0
	v_lshl_or_b32 v1, s6, 9, v0
	v_mov_b32_e32 v2, 0
	v_lshlrev_b64 v[1:2], 2, v[1:2]
	s_waitcnt lgkmcnt(0)
	v_mov_b32_e32 v3, s1
	v_add_co_u32_e32 v1, vcc, s0, v1
	v_addc_co_u32_e32 v2, vcc, v3, v2, vcc
	global_load_dword v1, v[1:2], off
	v_cmp_lt_u32_e32 vcc, 63, v0
	v_lshlrev_b32_e32 v2, 2, v0
	s_and_saveexec_b64 s[0:1], vcc
	s_cbranch_execz .LBB7_2
; %bb.1:
	s_waitcnt vmcnt(0)
	ds_write_b32 v2, v1
.LBB7_2:
	s_or_b64 exec, exec, s[0:1]
	v_cmp_gt_u32_e32 vcc, 64, v0
	s_waitcnt vmcnt(0) lgkmcnt(0)
	s_barrier
	s_and_saveexec_b64 s[0:1], vcc
	s_cbranch_execz .LBB7_4
; %bb.3:
	ds_read2st64_b32 v[3:4], v2 offset0:1 offset1:2
	ds_read2st64_b32 v[5:6], v2 offset0:3 offset1:4
	;; [unrolled: 1-line block ×3, first 2 shown]
	ds_read_b32 v2, v2 offset:1792
	v_mbcnt_lo_u32_b32 v9, -1, 0
	s_waitcnt lgkmcnt(3)
	v_add_u32_e32 v1, v3, v1
	s_waitcnt lgkmcnt(2)
	v_add3_u32 v1, v1, v4, v5
	s_waitcnt lgkmcnt(1)
	v_add3_u32 v1, v1, v6, v7
	;; [unrolled: 2-line block ×3, first 2 shown]
	v_bfrev_b32_e32 v3, 0.5
	s_nop 0
	v_mov_b32_dpp v2, v1 quad_perm:[1,0,3,2] row_mask:0xf bank_mask:0xf
	v_add_u32_e32 v1, v2, v1
	s_nop 1
	v_mov_b32_dpp v2, v1 quad_perm:[2,3,0,1] row_mask:0xf bank_mask:0xf
	v_add_u32_e32 v1, v1, v2
	s_nop 1
	v_mov_b32_dpp v2, v1 row_ror:4 row_mask:0xf bank_mask:0xf
	v_add_u32_e32 v1, v1, v2
	s_nop 1
	v_mov_b32_dpp v2, v1 row_ror:8 row_mask:0xf bank_mask:0xf
	v_add_u32_e32 v1, v1, v2
	s_nop 1
	v_mov_b32_dpp v2, v1 row_bcast:15 row_mask:0xf bank_mask:0xf
	v_add_u32_e32 v1, v1, v2
	s_nop 1
	v_mov_b32_dpp v2, v1 row_bcast:31 row_mask:0xf bank_mask:0xf
	v_add_u32_e32 v1, v1, v2
	v_mbcnt_hi_u32_b32 v2, -1, v9
	v_lshl_or_b32 v2, v2, 2, v3
	ds_bpermute_b32 v1, v2, v1
.LBB7_4:
	s_or_b64 exec, exec, s[0:1]
	s_mov_b32 s7, 0
	v_cmp_eq_u32_e32 vcc, 0, v0
	s_and_saveexec_b64 s[0:1], vcc
	s_cbranch_execz .LBB7_6
; %bb.5:
	s_lshl_b64 s[0:1], s[6:7], 2
	s_add_u32 s0, s2, s0
	s_addc_u32 s1, s3, s1
	v_mov_b32_e32 v0, 0
	s_waitcnt lgkmcnt(0)
	global_store_dword v0, v1, s[0:1]
.LBB7_6:
	s_endpgm
	.section	.rodata,"a",@progbits
	.p2align	6, 0x0
	.amdhsa_kernel _Z13reduce_kernelILj512ELN6hipcub20BlockReduceAlgorithmE2EiEvPT1_S3_
		.amdhsa_group_segment_fixed_size 2048
		.amdhsa_private_segment_fixed_size 0
		.amdhsa_kernarg_size 16
		.amdhsa_user_sgpr_count 6
		.amdhsa_user_sgpr_private_segment_buffer 1
		.amdhsa_user_sgpr_dispatch_ptr 0
		.amdhsa_user_sgpr_queue_ptr 0
		.amdhsa_user_sgpr_kernarg_segment_ptr 1
		.amdhsa_user_sgpr_dispatch_id 0
		.amdhsa_user_sgpr_flat_scratch_init 0
		.amdhsa_user_sgpr_private_segment_size 0
		.amdhsa_uses_dynamic_stack 0
		.amdhsa_system_sgpr_private_segment_wavefront_offset 0
		.amdhsa_system_sgpr_workgroup_id_x 1
		.amdhsa_system_sgpr_workgroup_id_y 0
		.amdhsa_system_sgpr_workgroup_id_z 0
		.amdhsa_system_sgpr_workgroup_info 0
		.amdhsa_system_vgpr_workitem_id 0
		.amdhsa_next_free_vgpr 10
		.amdhsa_next_free_sgpr 8
		.amdhsa_reserve_vcc 1
		.amdhsa_reserve_flat_scratch 0
		.amdhsa_float_round_mode_32 0
		.amdhsa_float_round_mode_16_64 0
		.amdhsa_float_denorm_mode_32 3
		.amdhsa_float_denorm_mode_16_64 3
		.amdhsa_dx10_clamp 1
		.amdhsa_ieee_mode 1
		.amdhsa_fp16_overflow 0
		.amdhsa_exception_fp_ieee_invalid_op 0
		.amdhsa_exception_fp_denorm_src 0
		.amdhsa_exception_fp_ieee_div_zero 0
		.amdhsa_exception_fp_ieee_overflow 0
		.amdhsa_exception_fp_ieee_underflow 0
		.amdhsa_exception_fp_ieee_inexact 0
		.amdhsa_exception_int_div_zero 0
	.end_amdhsa_kernel
	.section	.text._Z13reduce_kernelILj512ELN6hipcub20BlockReduceAlgorithmE2EiEvPT1_S3_,"axG",@progbits,_Z13reduce_kernelILj512ELN6hipcub20BlockReduceAlgorithmE2EiEvPT1_S3_,comdat
.Lfunc_end7:
	.size	_Z13reduce_kernelILj512ELN6hipcub20BlockReduceAlgorithmE2EiEvPT1_S3_, .Lfunc_end7-_Z13reduce_kernelILj512ELN6hipcub20BlockReduceAlgorithmE2EiEvPT1_S3_
                                        ; -- End function
	.set _Z13reduce_kernelILj512ELN6hipcub20BlockReduceAlgorithmE2EiEvPT1_S3_.num_vgpr, 10
	.set _Z13reduce_kernelILj512ELN6hipcub20BlockReduceAlgorithmE2EiEvPT1_S3_.num_agpr, 0
	.set _Z13reduce_kernelILj512ELN6hipcub20BlockReduceAlgorithmE2EiEvPT1_S3_.numbered_sgpr, 8
	.set _Z13reduce_kernelILj512ELN6hipcub20BlockReduceAlgorithmE2EiEvPT1_S3_.num_named_barrier, 0
	.set _Z13reduce_kernelILj512ELN6hipcub20BlockReduceAlgorithmE2EiEvPT1_S3_.private_seg_size, 0
	.set _Z13reduce_kernelILj512ELN6hipcub20BlockReduceAlgorithmE2EiEvPT1_S3_.uses_vcc, 1
	.set _Z13reduce_kernelILj512ELN6hipcub20BlockReduceAlgorithmE2EiEvPT1_S3_.uses_flat_scratch, 0
	.set _Z13reduce_kernelILj512ELN6hipcub20BlockReduceAlgorithmE2EiEvPT1_S3_.has_dyn_sized_stack, 0
	.set _Z13reduce_kernelILj512ELN6hipcub20BlockReduceAlgorithmE2EiEvPT1_S3_.has_recursion, 0
	.set _Z13reduce_kernelILj512ELN6hipcub20BlockReduceAlgorithmE2EiEvPT1_S3_.has_indirect_call, 0
	.section	.AMDGPU.csdata,"",@progbits
; Kernel info:
; codeLenInByte = 364
; TotalNumSgprs: 12
; NumVgprs: 10
; ScratchSize: 0
; MemoryBound: 0
; FloatMode: 240
; IeeeMode: 1
; LDSByteSize: 2048 bytes/workgroup (compile time only)
; SGPRBlocks: 1
; VGPRBlocks: 2
; NumSGPRsForWavesPerEU: 12
; NumVGPRsForWavesPerEU: 10
; Occupancy: 10
; WaveLimiterHint : 0
; COMPUTE_PGM_RSRC2:SCRATCH_EN: 0
; COMPUTE_PGM_RSRC2:USER_SGPR: 6
; COMPUTE_PGM_RSRC2:TRAP_HANDLER: 0
; COMPUTE_PGM_RSRC2:TGID_X_EN: 1
; COMPUTE_PGM_RSRC2:TGID_Y_EN: 0
; COMPUTE_PGM_RSRC2:TGID_Z_EN: 0
; COMPUTE_PGM_RSRC2:TIDIG_COMP_CNT: 0
	.section	.text._Z13reduce_kernelILj256ELN6hipcub20BlockReduceAlgorithmE2EiEvPT1_S3_,"axG",@progbits,_Z13reduce_kernelILj256ELN6hipcub20BlockReduceAlgorithmE2EiEvPT1_S3_,comdat
	.protected	_Z13reduce_kernelILj256ELN6hipcub20BlockReduceAlgorithmE2EiEvPT1_S3_ ; -- Begin function _Z13reduce_kernelILj256ELN6hipcub20BlockReduceAlgorithmE2EiEvPT1_S3_
	.globl	_Z13reduce_kernelILj256ELN6hipcub20BlockReduceAlgorithmE2EiEvPT1_S3_
	.p2align	8
	.type	_Z13reduce_kernelILj256ELN6hipcub20BlockReduceAlgorithmE2EiEvPT1_S3_,@function
_Z13reduce_kernelILj256ELN6hipcub20BlockReduceAlgorithmE2EiEvPT1_S3_: ; @_Z13reduce_kernelILj256ELN6hipcub20BlockReduceAlgorithmE2EiEvPT1_S3_
; %bb.0:
	s_load_dwordx4 s[0:3], s[4:5], 0x0
	v_lshl_or_b32 v1, s6, 8, v0
	v_mov_b32_e32 v2, 0
	v_lshlrev_b64 v[1:2], 2, v[1:2]
	s_waitcnt lgkmcnt(0)
	v_mov_b32_e32 v3, s1
	v_add_co_u32_e32 v1, vcc, s0, v1
	v_addc_co_u32_e32 v2, vcc, v3, v2, vcc
	global_load_dword v1, v[1:2], off
	v_cmp_lt_u32_e32 vcc, 63, v0
	v_lshlrev_b32_e32 v2, 2, v0
	s_and_saveexec_b64 s[0:1], vcc
	s_cbranch_execz .LBB8_2
; %bb.1:
	s_waitcnt vmcnt(0)
	ds_write_b32 v2, v1
.LBB8_2:
	s_or_b64 exec, exec, s[0:1]
	v_cmp_gt_u32_e32 vcc, 64, v0
	s_waitcnt vmcnt(0) lgkmcnt(0)
	s_barrier
	s_and_saveexec_b64 s[0:1], vcc
	s_cbranch_execz .LBB8_4
; %bb.3:
	ds_read2st64_b32 v[3:4], v2 offset0:1 offset1:2
	ds_read_b32 v2, v2 offset:768
	v_mbcnt_lo_u32_b32 v5, -1, 0
	v_bfrev_b32_e32 v6, 0.5
	v_mbcnt_hi_u32_b32 v5, -1, v5
	s_waitcnt lgkmcnt(1)
	v_add_u32_e32 v1, v3, v1
	s_waitcnt lgkmcnt(0)
	v_add3_u32 v1, v1, v4, v2
	s_nop 1
	v_mov_b32_dpp v2, v1 quad_perm:[1,0,3,2] row_mask:0xf bank_mask:0xf
	v_add_u32_e32 v1, v2, v1
	s_nop 1
	v_mov_b32_dpp v2, v1 quad_perm:[2,3,0,1] row_mask:0xf bank_mask:0xf
	v_add_u32_e32 v1, v1, v2
	s_nop 1
	v_mov_b32_dpp v2, v1 row_ror:4 row_mask:0xf bank_mask:0xf
	v_add_u32_e32 v1, v1, v2
	s_nop 1
	v_mov_b32_dpp v2, v1 row_ror:8 row_mask:0xf bank_mask:0xf
	v_add_u32_e32 v1, v1, v2
	s_nop 1
	v_mov_b32_dpp v2, v1 row_bcast:15 row_mask:0xf bank_mask:0xf
	v_add_u32_e32 v1, v1, v2
	s_nop 1
	v_mov_b32_dpp v2, v1 row_bcast:31 row_mask:0xf bank_mask:0xf
	v_add_u32_e32 v1, v1, v2
	v_lshl_or_b32 v2, v5, 2, v6
	ds_bpermute_b32 v1, v2, v1
.LBB8_4:
	s_or_b64 exec, exec, s[0:1]
	s_mov_b32 s7, 0
	v_cmp_eq_u32_e32 vcc, 0, v0
	s_and_saveexec_b64 s[0:1], vcc
	s_cbranch_execz .LBB8_6
; %bb.5:
	s_lshl_b64 s[0:1], s[6:7], 2
	s_add_u32 s0, s2, s0
	s_addc_u32 s1, s3, s1
	v_mov_b32_e32 v0, 0
	s_waitcnt lgkmcnt(0)
	global_store_dword v0, v1, s[0:1]
.LBB8_6:
	s_endpgm
	.section	.rodata,"a",@progbits
	.p2align	6, 0x0
	.amdhsa_kernel _Z13reduce_kernelILj256ELN6hipcub20BlockReduceAlgorithmE2EiEvPT1_S3_
		.amdhsa_group_segment_fixed_size 1024
		.amdhsa_private_segment_fixed_size 0
		.amdhsa_kernarg_size 16
		.amdhsa_user_sgpr_count 6
		.amdhsa_user_sgpr_private_segment_buffer 1
		.amdhsa_user_sgpr_dispatch_ptr 0
		.amdhsa_user_sgpr_queue_ptr 0
		.amdhsa_user_sgpr_kernarg_segment_ptr 1
		.amdhsa_user_sgpr_dispatch_id 0
		.amdhsa_user_sgpr_flat_scratch_init 0
		.amdhsa_user_sgpr_private_segment_size 0
		.amdhsa_uses_dynamic_stack 0
		.amdhsa_system_sgpr_private_segment_wavefront_offset 0
		.amdhsa_system_sgpr_workgroup_id_x 1
		.amdhsa_system_sgpr_workgroup_id_y 0
		.amdhsa_system_sgpr_workgroup_id_z 0
		.amdhsa_system_sgpr_workgroup_info 0
		.amdhsa_system_vgpr_workitem_id 0
		.amdhsa_next_free_vgpr 7
		.amdhsa_next_free_sgpr 8
		.amdhsa_reserve_vcc 1
		.amdhsa_reserve_flat_scratch 0
		.amdhsa_float_round_mode_32 0
		.amdhsa_float_round_mode_16_64 0
		.amdhsa_float_denorm_mode_32 3
		.amdhsa_float_denorm_mode_16_64 3
		.amdhsa_dx10_clamp 1
		.amdhsa_ieee_mode 1
		.amdhsa_fp16_overflow 0
		.amdhsa_exception_fp_ieee_invalid_op 0
		.amdhsa_exception_fp_denorm_src 0
		.amdhsa_exception_fp_ieee_div_zero 0
		.amdhsa_exception_fp_ieee_overflow 0
		.amdhsa_exception_fp_ieee_underflow 0
		.amdhsa_exception_fp_ieee_inexact 0
		.amdhsa_exception_int_div_zero 0
	.end_amdhsa_kernel
	.section	.text._Z13reduce_kernelILj256ELN6hipcub20BlockReduceAlgorithmE2EiEvPT1_S3_,"axG",@progbits,_Z13reduce_kernelILj256ELN6hipcub20BlockReduceAlgorithmE2EiEvPT1_S3_,comdat
.Lfunc_end8:
	.size	_Z13reduce_kernelILj256ELN6hipcub20BlockReduceAlgorithmE2EiEvPT1_S3_, .Lfunc_end8-_Z13reduce_kernelILj256ELN6hipcub20BlockReduceAlgorithmE2EiEvPT1_S3_
                                        ; -- End function
	.set _Z13reduce_kernelILj256ELN6hipcub20BlockReduceAlgorithmE2EiEvPT1_S3_.num_vgpr, 7
	.set _Z13reduce_kernelILj256ELN6hipcub20BlockReduceAlgorithmE2EiEvPT1_S3_.num_agpr, 0
	.set _Z13reduce_kernelILj256ELN6hipcub20BlockReduceAlgorithmE2EiEvPT1_S3_.numbered_sgpr, 8
	.set _Z13reduce_kernelILj256ELN6hipcub20BlockReduceAlgorithmE2EiEvPT1_S3_.num_named_barrier, 0
	.set _Z13reduce_kernelILj256ELN6hipcub20BlockReduceAlgorithmE2EiEvPT1_S3_.private_seg_size, 0
	.set _Z13reduce_kernelILj256ELN6hipcub20BlockReduceAlgorithmE2EiEvPT1_S3_.uses_vcc, 1
	.set _Z13reduce_kernelILj256ELN6hipcub20BlockReduceAlgorithmE2EiEvPT1_S3_.uses_flat_scratch, 0
	.set _Z13reduce_kernelILj256ELN6hipcub20BlockReduceAlgorithmE2EiEvPT1_S3_.has_dyn_sized_stack, 0
	.set _Z13reduce_kernelILj256ELN6hipcub20BlockReduceAlgorithmE2EiEvPT1_S3_.has_recursion, 0
	.set _Z13reduce_kernelILj256ELN6hipcub20BlockReduceAlgorithmE2EiEvPT1_S3_.has_indirect_call, 0
	.section	.AMDGPU.csdata,"",@progbits
; Kernel info:
; codeLenInByte = 324
; TotalNumSgprs: 12
; NumVgprs: 7
; ScratchSize: 0
; MemoryBound: 0
; FloatMode: 240
; IeeeMode: 1
; LDSByteSize: 1024 bytes/workgroup (compile time only)
; SGPRBlocks: 1
; VGPRBlocks: 1
; NumSGPRsForWavesPerEU: 12
; NumVGPRsForWavesPerEU: 7
; Occupancy: 10
; WaveLimiterHint : 0
; COMPUTE_PGM_RSRC2:SCRATCH_EN: 0
; COMPUTE_PGM_RSRC2:USER_SGPR: 6
; COMPUTE_PGM_RSRC2:TRAP_HANDLER: 0
; COMPUTE_PGM_RSRC2:TGID_X_EN: 1
; COMPUTE_PGM_RSRC2:TGID_Y_EN: 0
; COMPUTE_PGM_RSRC2:TGID_Z_EN: 0
; COMPUTE_PGM_RSRC2:TIDIG_COMP_CNT: 0
	.section	.text._Z13reduce_kernelILj192ELN6hipcub20BlockReduceAlgorithmE2EiEvPT1_S3_,"axG",@progbits,_Z13reduce_kernelILj192ELN6hipcub20BlockReduceAlgorithmE2EiEvPT1_S3_,comdat
	.protected	_Z13reduce_kernelILj192ELN6hipcub20BlockReduceAlgorithmE2EiEvPT1_S3_ ; -- Begin function _Z13reduce_kernelILj192ELN6hipcub20BlockReduceAlgorithmE2EiEvPT1_S3_
	.globl	_Z13reduce_kernelILj192ELN6hipcub20BlockReduceAlgorithmE2EiEvPT1_S3_
	.p2align	8
	.type	_Z13reduce_kernelILj192ELN6hipcub20BlockReduceAlgorithmE2EiEvPT1_S3_,@function
_Z13reduce_kernelILj192ELN6hipcub20BlockReduceAlgorithmE2EiEvPT1_S3_: ; @_Z13reduce_kernelILj192ELN6hipcub20BlockReduceAlgorithmE2EiEvPT1_S3_
; %bb.0:
	s_load_dwordx4 s[0:3], s[4:5], 0x0
	s_mul_i32 s4, s6, 0xc0
	v_add_u32_e32 v1, s4, v0
	v_mov_b32_e32 v2, 0
	v_lshlrev_b64 v[1:2], 2, v[1:2]
	s_waitcnt lgkmcnt(0)
	v_mov_b32_e32 v3, s1
	v_add_co_u32_e32 v1, vcc, s0, v1
	v_addc_co_u32_e32 v2, vcc, v3, v2, vcc
	global_load_dword v1, v[1:2], off
	v_cmp_lt_u32_e32 vcc, 63, v0
	v_lshlrev_b32_e32 v2, 2, v0
	s_and_saveexec_b64 s[0:1], vcc
	s_cbranch_execz .LBB9_2
; %bb.1:
	s_waitcnt vmcnt(0)
	ds_write_b32 v2, v1
.LBB9_2:
	s_or_b64 exec, exec, s[0:1]
	v_cmp_gt_u32_e32 vcc, 64, v0
	s_waitcnt vmcnt(0) lgkmcnt(0)
	s_barrier
	s_and_saveexec_b64 s[0:1], vcc
	s_cbranch_execz .LBB9_4
; %bb.3:
	ds_read2st64_b32 v[2:3], v2 offset0:1 offset1:2
	v_mbcnt_lo_u32_b32 v4, -1, 0
	v_bfrev_b32_e32 v5, 0.5
	v_mbcnt_hi_u32_b32 v4, -1, v4
	s_waitcnt lgkmcnt(0)
	v_add3_u32 v1, v2, v1, v3
	s_nop 1
	v_mov_b32_dpp v2, v1 quad_perm:[1,0,3,2] row_mask:0xf bank_mask:0xf
	v_add_u32_e32 v1, v2, v1
	s_nop 1
	v_mov_b32_dpp v2, v1 quad_perm:[2,3,0,1] row_mask:0xf bank_mask:0xf
	v_add_u32_e32 v1, v1, v2
	s_nop 1
	v_mov_b32_dpp v2, v1 row_ror:4 row_mask:0xf bank_mask:0xf
	v_add_u32_e32 v1, v1, v2
	s_nop 1
	v_mov_b32_dpp v2, v1 row_ror:8 row_mask:0xf bank_mask:0xf
	v_add_u32_e32 v1, v1, v2
	s_nop 1
	v_mov_b32_dpp v2, v1 row_bcast:15 row_mask:0xf bank_mask:0xf
	v_add_u32_e32 v1, v1, v2
	s_nop 1
	v_mov_b32_dpp v2, v1 row_bcast:31 row_mask:0xf bank_mask:0xf
	v_add_u32_e32 v1, v1, v2
	v_lshl_or_b32 v2, v4, 2, v5
	ds_bpermute_b32 v1, v2, v1
.LBB9_4:
	s_or_b64 exec, exec, s[0:1]
	s_mov_b32 s7, 0
	v_cmp_eq_u32_e32 vcc, 0, v0
	s_and_saveexec_b64 s[0:1], vcc
	s_cbranch_execz .LBB9_6
; %bb.5:
	s_lshl_b64 s[0:1], s[6:7], 2
	s_add_u32 s0, s2, s0
	s_addc_u32 s1, s3, s1
	v_mov_b32_e32 v0, 0
	s_waitcnt lgkmcnt(0)
	global_store_dword v0, v1, s[0:1]
.LBB9_6:
	s_endpgm
	.section	.rodata,"a",@progbits
	.p2align	6, 0x0
	.amdhsa_kernel _Z13reduce_kernelILj192ELN6hipcub20BlockReduceAlgorithmE2EiEvPT1_S3_
		.amdhsa_group_segment_fixed_size 768
		.amdhsa_private_segment_fixed_size 0
		.amdhsa_kernarg_size 16
		.amdhsa_user_sgpr_count 6
		.amdhsa_user_sgpr_private_segment_buffer 1
		.amdhsa_user_sgpr_dispatch_ptr 0
		.amdhsa_user_sgpr_queue_ptr 0
		.amdhsa_user_sgpr_kernarg_segment_ptr 1
		.amdhsa_user_sgpr_dispatch_id 0
		.amdhsa_user_sgpr_flat_scratch_init 0
		.amdhsa_user_sgpr_private_segment_size 0
		.amdhsa_uses_dynamic_stack 0
		.amdhsa_system_sgpr_private_segment_wavefront_offset 0
		.amdhsa_system_sgpr_workgroup_id_x 1
		.amdhsa_system_sgpr_workgroup_id_y 0
		.amdhsa_system_sgpr_workgroup_id_z 0
		.amdhsa_system_sgpr_workgroup_info 0
		.amdhsa_system_vgpr_workitem_id 0
		.amdhsa_next_free_vgpr 6
		.amdhsa_next_free_sgpr 8
		.amdhsa_reserve_vcc 1
		.amdhsa_reserve_flat_scratch 0
		.amdhsa_float_round_mode_32 0
		.amdhsa_float_round_mode_16_64 0
		.amdhsa_float_denorm_mode_32 3
		.amdhsa_float_denorm_mode_16_64 3
		.amdhsa_dx10_clamp 1
		.amdhsa_ieee_mode 1
		.amdhsa_fp16_overflow 0
		.amdhsa_exception_fp_ieee_invalid_op 0
		.amdhsa_exception_fp_denorm_src 0
		.amdhsa_exception_fp_ieee_div_zero 0
		.amdhsa_exception_fp_ieee_overflow 0
		.amdhsa_exception_fp_ieee_underflow 0
		.amdhsa_exception_fp_ieee_inexact 0
		.amdhsa_exception_int_div_zero 0
	.end_amdhsa_kernel
	.section	.text._Z13reduce_kernelILj192ELN6hipcub20BlockReduceAlgorithmE2EiEvPT1_S3_,"axG",@progbits,_Z13reduce_kernelILj192ELN6hipcub20BlockReduceAlgorithmE2EiEvPT1_S3_,comdat
.Lfunc_end9:
	.size	_Z13reduce_kernelILj192ELN6hipcub20BlockReduceAlgorithmE2EiEvPT1_S3_, .Lfunc_end9-_Z13reduce_kernelILj192ELN6hipcub20BlockReduceAlgorithmE2EiEvPT1_S3_
                                        ; -- End function
	.set _Z13reduce_kernelILj192ELN6hipcub20BlockReduceAlgorithmE2EiEvPT1_S3_.num_vgpr, 6
	.set _Z13reduce_kernelILj192ELN6hipcub20BlockReduceAlgorithmE2EiEvPT1_S3_.num_agpr, 0
	.set _Z13reduce_kernelILj192ELN6hipcub20BlockReduceAlgorithmE2EiEvPT1_S3_.numbered_sgpr, 8
	.set _Z13reduce_kernelILj192ELN6hipcub20BlockReduceAlgorithmE2EiEvPT1_S3_.num_named_barrier, 0
	.set _Z13reduce_kernelILj192ELN6hipcub20BlockReduceAlgorithmE2EiEvPT1_S3_.private_seg_size, 0
	.set _Z13reduce_kernelILj192ELN6hipcub20BlockReduceAlgorithmE2EiEvPT1_S3_.uses_vcc, 1
	.set _Z13reduce_kernelILj192ELN6hipcub20BlockReduceAlgorithmE2EiEvPT1_S3_.uses_flat_scratch, 0
	.set _Z13reduce_kernelILj192ELN6hipcub20BlockReduceAlgorithmE2EiEvPT1_S3_.has_dyn_sized_stack, 0
	.set _Z13reduce_kernelILj192ELN6hipcub20BlockReduceAlgorithmE2EiEvPT1_S3_.has_recursion, 0
	.set _Z13reduce_kernelILj192ELN6hipcub20BlockReduceAlgorithmE2EiEvPT1_S3_.has_indirect_call, 0
	.section	.AMDGPU.csdata,"",@progbits
; Kernel info:
; codeLenInByte = 312
; TotalNumSgprs: 12
; NumVgprs: 6
; ScratchSize: 0
; MemoryBound: 0
; FloatMode: 240
; IeeeMode: 1
; LDSByteSize: 768 bytes/workgroup (compile time only)
; SGPRBlocks: 1
; VGPRBlocks: 1
; NumSGPRsForWavesPerEU: 12
; NumVGPRsForWavesPerEU: 6
; Occupancy: 10
; WaveLimiterHint : 0
; COMPUTE_PGM_RSRC2:SCRATCH_EN: 0
; COMPUTE_PGM_RSRC2:USER_SGPR: 6
; COMPUTE_PGM_RSRC2:TRAP_HANDLER: 0
; COMPUTE_PGM_RSRC2:TGID_X_EN: 1
; COMPUTE_PGM_RSRC2:TGID_Y_EN: 0
; COMPUTE_PGM_RSRC2:TGID_Z_EN: 0
; COMPUTE_PGM_RSRC2:TIDIG_COMP_CNT: 0
	.section	.text._Z13reduce_kernelILj128ELN6hipcub20BlockReduceAlgorithmE2EiEvPT1_S3_,"axG",@progbits,_Z13reduce_kernelILj128ELN6hipcub20BlockReduceAlgorithmE2EiEvPT1_S3_,comdat
	.protected	_Z13reduce_kernelILj128ELN6hipcub20BlockReduceAlgorithmE2EiEvPT1_S3_ ; -- Begin function _Z13reduce_kernelILj128ELN6hipcub20BlockReduceAlgorithmE2EiEvPT1_S3_
	.globl	_Z13reduce_kernelILj128ELN6hipcub20BlockReduceAlgorithmE2EiEvPT1_S3_
	.p2align	8
	.type	_Z13reduce_kernelILj128ELN6hipcub20BlockReduceAlgorithmE2EiEvPT1_S3_,@function
_Z13reduce_kernelILj128ELN6hipcub20BlockReduceAlgorithmE2EiEvPT1_S3_: ; @_Z13reduce_kernelILj128ELN6hipcub20BlockReduceAlgorithmE2EiEvPT1_S3_
; %bb.0:
	s_load_dwordx4 s[0:3], s[4:5], 0x0
	v_lshl_or_b32 v1, s6, 7, v0
	v_mov_b32_e32 v2, 0
	v_lshlrev_b64 v[1:2], 2, v[1:2]
	s_waitcnt lgkmcnt(0)
	v_mov_b32_e32 v3, s1
	v_add_co_u32_e32 v1, vcc, s0, v1
	v_addc_co_u32_e32 v2, vcc, v3, v2, vcc
	global_load_dword v1, v[1:2], off
	v_cmp_lt_u32_e32 vcc, 63, v0
	v_lshlrev_b32_e32 v2, 2, v0
	s_and_saveexec_b64 s[0:1], vcc
	s_cbranch_execz .LBB10_2
; %bb.1:
	s_waitcnt vmcnt(0)
	ds_write_b32 v2, v1
.LBB10_2:
	s_or_b64 exec, exec, s[0:1]
	v_cmp_gt_u32_e32 vcc, 64, v0
	s_waitcnt vmcnt(0) lgkmcnt(0)
	s_barrier
	s_and_saveexec_b64 s[0:1], vcc
	s_cbranch_execz .LBB10_4
; %bb.3:
	ds_read_b32 v2, v2 offset:256
	v_mbcnt_lo_u32_b32 v3, -1, 0
	v_bfrev_b32_e32 v4, 0.5
	v_mbcnt_hi_u32_b32 v3, -1, v3
	s_waitcnt lgkmcnt(0)
	v_add_u32_e32 v1, v2, v1
	s_nop 1
	v_mov_b32_dpp v2, v1 quad_perm:[1,0,3,2] row_mask:0xf bank_mask:0xf
	v_add_u32_e32 v1, v2, v1
	s_nop 1
	v_mov_b32_dpp v2, v1 quad_perm:[2,3,0,1] row_mask:0xf bank_mask:0xf
	v_add_u32_e32 v1, v1, v2
	s_nop 1
	v_mov_b32_dpp v2, v1 row_ror:4 row_mask:0xf bank_mask:0xf
	v_add_u32_e32 v1, v1, v2
	s_nop 1
	v_mov_b32_dpp v2, v1 row_ror:8 row_mask:0xf bank_mask:0xf
	v_add_u32_e32 v1, v1, v2
	s_nop 1
	v_mov_b32_dpp v2, v1 row_bcast:15 row_mask:0xf bank_mask:0xf
	v_add_u32_e32 v1, v1, v2
	s_nop 1
	v_mov_b32_dpp v2, v1 row_bcast:31 row_mask:0xf bank_mask:0xf
	v_add_u32_e32 v1, v1, v2
	v_lshl_or_b32 v2, v3, 2, v4
	ds_bpermute_b32 v1, v2, v1
.LBB10_4:
	s_or_b64 exec, exec, s[0:1]
	s_mov_b32 s7, 0
	v_cmp_eq_u32_e32 vcc, 0, v0
	s_and_saveexec_b64 s[0:1], vcc
	s_cbranch_execz .LBB10_6
; %bb.5:
	s_lshl_b64 s[0:1], s[6:7], 2
	s_add_u32 s0, s2, s0
	s_addc_u32 s1, s3, s1
	v_mov_b32_e32 v0, 0
	s_waitcnt lgkmcnt(0)
	global_store_dword v0, v1, s[0:1]
.LBB10_6:
	s_endpgm
	.section	.rodata,"a",@progbits
	.p2align	6, 0x0
	.amdhsa_kernel _Z13reduce_kernelILj128ELN6hipcub20BlockReduceAlgorithmE2EiEvPT1_S3_
		.amdhsa_group_segment_fixed_size 512
		.amdhsa_private_segment_fixed_size 0
		.amdhsa_kernarg_size 16
		.amdhsa_user_sgpr_count 6
		.amdhsa_user_sgpr_private_segment_buffer 1
		.amdhsa_user_sgpr_dispatch_ptr 0
		.amdhsa_user_sgpr_queue_ptr 0
		.amdhsa_user_sgpr_kernarg_segment_ptr 1
		.amdhsa_user_sgpr_dispatch_id 0
		.amdhsa_user_sgpr_flat_scratch_init 0
		.amdhsa_user_sgpr_private_segment_size 0
		.amdhsa_uses_dynamic_stack 0
		.amdhsa_system_sgpr_private_segment_wavefront_offset 0
		.amdhsa_system_sgpr_workgroup_id_x 1
		.amdhsa_system_sgpr_workgroup_id_y 0
		.amdhsa_system_sgpr_workgroup_id_z 0
		.amdhsa_system_sgpr_workgroup_info 0
		.amdhsa_system_vgpr_workitem_id 0
		.amdhsa_next_free_vgpr 5
		.amdhsa_next_free_sgpr 8
		.amdhsa_reserve_vcc 1
		.amdhsa_reserve_flat_scratch 0
		.amdhsa_float_round_mode_32 0
		.amdhsa_float_round_mode_16_64 0
		.amdhsa_float_denorm_mode_32 3
		.amdhsa_float_denorm_mode_16_64 3
		.amdhsa_dx10_clamp 1
		.amdhsa_ieee_mode 1
		.amdhsa_fp16_overflow 0
		.amdhsa_exception_fp_ieee_invalid_op 0
		.amdhsa_exception_fp_denorm_src 0
		.amdhsa_exception_fp_ieee_div_zero 0
		.amdhsa_exception_fp_ieee_overflow 0
		.amdhsa_exception_fp_ieee_underflow 0
		.amdhsa_exception_fp_ieee_inexact 0
		.amdhsa_exception_int_div_zero 0
	.end_amdhsa_kernel
	.section	.text._Z13reduce_kernelILj128ELN6hipcub20BlockReduceAlgorithmE2EiEvPT1_S3_,"axG",@progbits,_Z13reduce_kernelILj128ELN6hipcub20BlockReduceAlgorithmE2EiEvPT1_S3_,comdat
.Lfunc_end10:
	.size	_Z13reduce_kernelILj128ELN6hipcub20BlockReduceAlgorithmE2EiEvPT1_S3_, .Lfunc_end10-_Z13reduce_kernelILj128ELN6hipcub20BlockReduceAlgorithmE2EiEvPT1_S3_
                                        ; -- End function
	.set _Z13reduce_kernelILj128ELN6hipcub20BlockReduceAlgorithmE2EiEvPT1_S3_.num_vgpr, 5
	.set _Z13reduce_kernelILj128ELN6hipcub20BlockReduceAlgorithmE2EiEvPT1_S3_.num_agpr, 0
	.set _Z13reduce_kernelILj128ELN6hipcub20BlockReduceAlgorithmE2EiEvPT1_S3_.numbered_sgpr, 8
	.set _Z13reduce_kernelILj128ELN6hipcub20BlockReduceAlgorithmE2EiEvPT1_S3_.num_named_barrier, 0
	.set _Z13reduce_kernelILj128ELN6hipcub20BlockReduceAlgorithmE2EiEvPT1_S3_.private_seg_size, 0
	.set _Z13reduce_kernelILj128ELN6hipcub20BlockReduceAlgorithmE2EiEvPT1_S3_.uses_vcc, 1
	.set _Z13reduce_kernelILj128ELN6hipcub20BlockReduceAlgorithmE2EiEvPT1_S3_.uses_flat_scratch, 0
	.set _Z13reduce_kernelILj128ELN6hipcub20BlockReduceAlgorithmE2EiEvPT1_S3_.has_dyn_sized_stack, 0
	.set _Z13reduce_kernelILj128ELN6hipcub20BlockReduceAlgorithmE2EiEvPT1_S3_.has_recursion, 0
	.set _Z13reduce_kernelILj128ELN6hipcub20BlockReduceAlgorithmE2EiEvPT1_S3_.has_indirect_call, 0
	.section	.AMDGPU.csdata,"",@progbits
; Kernel info:
; codeLenInByte = 304
; TotalNumSgprs: 12
; NumVgprs: 5
; ScratchSize: 0
; MemoryBound: 0
; FloatMode: 240
; IeeeMode: 1
; LDSByteSize: 512 bytes/workgroup (compile time only)
; SGPRBlocks: 1
; VGPRBlocks: 1
; NumSGPRsForWavesPerEU: 12
; NumVGPRsForWavesPerEU: 5
; Occupancy: 10
; WaveLimiterHint : 0
; COMPUTE_PGM_RSRC2:SCRATCH_EN: 0
; COMPUTE_PGM_RSRC2:USER_SGPR: 6
; COMPUTE_PGM_RSRC2:TRAP_HANDLER: 0
; COMPUTE_PGM_RSRC2:TGID_X_EN: 1
; COMPUTE_PGM_RSRC2:TGID_Y_EN: 0
; COMPUTE_PGM_RSRC2:TGID_Z_EN: 0
; COMPUTE_PGM_RSRC2:TIDIG_COMP_CNT: 0
	.section	.text._Z13reduce_kernelILj64ELN6hipcub20BlockReduceAlgorithmE2EiEvPT1_S3_,"axG",@progbits,_Z13reduce_kernelILj64ELN6hipcub20BlockReduceAlgorithmE2EiEvPT1_S3_,comdat
	.protected	_Z13reduce_kernelILj64ELN6hipcub20BlockReduceAlgorithmE2EiEvPT1_S3_ ; -- Begin function _Z13reduce_kernelILj64ELN6hipcub20BlockReduceAlgorithmE2EiEvPT1_S3_
	.globl	_Z13reduce_kernelILj64ELN6hipcub20BlockReduceAlgorithmE2EiEvPT1_S3_
	.p2align	8
	.type	_Z13reduce_kernelILj64ELN6hipcub20BlockReduceAlgorithmE2EiEvPT1_S3_,@function
_Z13reduce_kernelILj64ELN6hipcub20BlockReduceAlgorithmE2EiEvPT1_S3_: ; @_Z13reduce_kernelILj64ELN6hipcub20BlockReduceAlgorithmE2EiEvPT1_S3_
; %bb.0:
	s_load_dwordx4 s[0:3], s[4:5], 0x0
	v_lshl_or_b32 v1, s6, 6, v0
	v_mov_b32_e32 v2, 0
	v_lshlrev_b64 v[1:2], 2, v[1:2]
	s_waitcnt lgkmcnt(0)
	v_mov_b32_e32 v3, s1
	v_add_co_u32_e32 v1, vcc, s0, v1
	v_addc_co_u32_e32 v2, vcc, v3, v2, vcc
	global_load_dword v1, v[1:2], off
	v_cmp_lt_u32_e32 vcc, 63, v0
	s_and_saveexec_b64 s[0:1], vcc
	s_cbranch_execz .LBB11_2
; %bb.1:
	v_lshlrev_b32_e32 v2, 2, v0
	s_waitcnt vmcnt(0)
	ds_write_b32 v2, v1
.LBB11_2:
	s_or_b64 exec, exec, s[0:1]
	v_cmp_gt_u32_e32 vcc, 64, v0
	s_waitcnt lgkmcnt(0)
	; wave barrier
	s_and_saveexec_b64 s[0:1], vcc
	s_cbranch_execz .LBB11_4
; %bb.3:
	s_waitcnt vmcnt(0)
	v_mov_b32_dpp v2, v1 quad_perm:[1,0,3,2] row_mask:0xf bank_mask:0xf
	v_add_u32_e32 v1, v2, v1
	v_bfrev_b32_e32 v3, 0.5
	s_nop 0
	v_mov_b32_dpp v2, v1 quad_perm:[2,3,0,1] row_mask:0xf bank_mask:0xf
	v_add_u32_e32 v1, v1, v2
	s_nop 1
	v_mov_b32_dpp v2, v1 row_ror:4 row_mask:0xf bank_mask:0xf
	v_add_u32_e32 v1, v1, v2
	s_nop 1
	v_mov_b32_dpp v2, v1 row_ror:8 row_mask:0xf bank_mask:0xf
	v_add_u32_e32 v1, v1, v2
	s_nop 1
	v_mov_b32_dpp v2, v1 row_bcast:15 row_mask:0xf bank_mask:0xf
	v_add_u32_e32 v1, v1, v2
	s_nop 1
	v_mov_b32_dpp v2, v1 row_bcast:31 row_mask:0xf bank_mask:0xf
	v_add_u32_e32 v1, v1, v2
	v_mbcnt_lo_u32_b32 v2, -1, 0
	v_mbcnt_hi_u32_b32 v2, -1, v2
	v_lshl_or_b32 v2, v2, 2, v3
	ds_bpermute_b32 v1, v2, v1
.LBB11_4:
	s_or_b64 exec, exec, s[0:1]
	s_mov_b32 s7, 0
	v_cmp_eq_u32_e32 vcc, 0, v0
	s_and_saveexec_b64 s[0:1], vcc
	s_cbranch_execz .LBB11_6
; %bb.5:
	s_lshl_b64 s[0:1], s[6:7], 2
	s_add_u32 s0, s2, s0
	s_addc_u32 s1, s3, s1
	v_mov_b32_e32 v0, 0
	s_waitcnt vmcnt(0) lgkmcnt(0)
	global_store_dword v0, v1, s[0:1]
.LBB11_6:
	s_endpgm
	.section	.rodata,"a",@progbits
	.p2align	6, 0x0
	.amdhsa_kernel _Z13reduce_kernelILj64ELN6hipcub20BlockReduceAlgorithmE2EiEvPT1_S3_
		.amdhsa_group_segment_fixed_size 256
		.amdhsa_private_segment_fixed_size 0
		.amdhsa_kernarg_size 16
		.amdhsa_user_sgpr_count 6
		.amdhsa_user_sgpr_private_segment_buffer 1
		.amdhsa_user_sgpr_dispatch_ptr 0
		.amdhsa_user_sgpr_queue_ptr 0
		.amdhsa_user_sgpr_kernarg_segment_ptr 1
		.amdhsa_user_sgpr_dispatch_id 0
		.amdhsa_user_sgpr_flat_scratch_init 0
		.amdhsa_user_sgpr_private_segment_size 0
		.amdhsa_uses_dynamic_stack 0
		.amdhsa_system_sgpr_private_segment_wavefront_offset 0
		.amdhsa_system_sgpr_workgroup_id_x 1
		.amdhsa_system_sgpr_workgroup_id_y 0
		.amdhsa_system_sgpr_workgroup_id_z 0
		.amdhsa_system_sgpr_workgroup_info 0
		.amdhsa_system_vgpr_workitem_id 0
		.amdhsa_next_free_vgpr 4
		.amdhsa_next_free_sgpr 8
		.amdhsa_reserve_vcc 1
		.amdhsa_reserve_flat_scratch 0
		.amdhsa_float_round_mode_32 0
		.amdhsa_float_round_mode_16_64 0
		.amdhsa_float_denorm_mode_32 3
		.amdhsa_float_denorm_mode_16_64 3
		.amdhsa_dx10_clamp 1
		.amdhsa_ieee_mode 1
		.amdhsa_fp16_overflow 0
		.amdhsa_exception_fp_ieee_invalid_op 0
		.amdhsa_exception_fp_denorm_src 0
		.amdhsa_exception_fp_ieee_div_zero 0
		.amdhsa_exception_fp_ieee_overflow 0
		.amdhsa_exception_fp_ieee_underflow 0
		.amdhsa_exception_fp_ieee_inexact 0
		.amdhsa_exception_int_div_zero 0
	.end_amdhsa_kernel
	.section	.text._Z13reduce_kernelILj64ELN6hipcub20BlockReduceAlgorithmE2EiEvPT1_S3_,"axG",@progbits,_Z13reduce_kernelILj64ELN6hipcub20BlockReduceAlgorithmE2EiEvPT1_S3_,comdat
.Lfunc_end11:
	.size	_Z13reduce_kernelILj64ELN6hipcub20BlockReduceAlgorithmE2EiEvPT1_S3_, .Lfunc_end11-_Z13reduce_kernelILj64ELN6hipcub20BlockReduceAlgorithmE2EiEvPT1_S3_
                                        ; -- End function
	.set _Z13reduce_kernelILj64ELN6hipcub20BlockReduceAlgorithmE2EiEvPT1_S3_.num_vgpr, 4
	.set _Z13reduce_kernelILj64ELN6hipcub20BlockReduceAlgorithmE2EiEvPT1_S3_.num_agpr, 0
	.set _Z13reduce_kernelILj64ELN6hipcub20BlockReduceAlgorithmE2EiEvPT1_S3_.numbered_sgpr, 8
	.set _Z13reduce_kernelILj64ELN6hipcub20BlockReduceAlgorithmE2EiEvPT1_S3_.num_named_barrier, 0
	.set _Z13reduce_kernelILj64ELN6hipcub20BlockReduceAlgorithmE2EiEvPT1_S3_.private_seg_size, 0
	.set _Z13reduce_kernelILj64ELN6hipcub20BlockReduceAlgorithmE2EiEvPT1_S3_.uses_vcc, 1
	.set _Z13reduce_kernelILj64ELN6hipcub20BlockReduceAlgorithmE2EiEvPT1_S3_.uses_flat_scratch, 0
	.set _Z13reduce_kernelILj64ELN6hipcub20BlockReduceAlgorithmE2EiEvPT1_S3_.has_dyn_sized_stack, 0
	.set _Z13reduce_kernelILj64ELN6hipcub20BlockReduceAlgorithmE2EiEvPT1_S3_.has_recursion, 0
	.set _Z13reduce_kernelILj64ELN6hipcub20BlockReduceAlgorithmE2EiEvPT1_S3_.has_indirect_call, 0
	.section	.AMDGPU.csdata,"",@progbits
; Kernel info:
; codeLenInByte = 284
; TotalNumSgprs: 12
; NumVgprs: 4
; ScratchSize: 0
; MemoryBound: 0
; FloatMode: 240
; IeeeMode: 1
; LDSByteSize: 256 bytes/workgroup (compile time only)
; SGPRBlocks: 1
; VGPRBlocks: 0
; NumSGPRsForWavesPerEU: 12
; NumVGPRsForWavesPerEU: 4
; Occupancy: 10
; WaveLimiterHint : 0
; COMPUTE_PGM_RSRC2:SCRATCH_EN: 0
; COMPUTE_PGM_RSRC2:USER_SGPR: 6
; COMPUTE_PGM_RSRC2:TRAP_HANDLER: 0
; COMPUTE_PGM_RSRC2:TGID_X_EN: 1
; COMPUTE_PGM_RSRC2:TGID_Y_EN: 0
; COMPUTE_PGM_RSRC2:TGID_Z_EN: 0
; COMPUTE_PGM_RSRC2:TIDIG_COMP_CNT: 0
	.section	.text._Z13reduce_kernelILj377ELN6hipcub20BlockReduceAlgorithmE1EhEvPT1_S3_,"axG",@progbits,_Z13reduce_kernelILj377ELN6hipcub20BlockReduceAlgorithmE1EhEvPT1_S3_,comdat
	.protected	_Z13reduce_kernelILj377ELN6hipcub20BlockReduceAlgorithmE1EhEvPT1_S3_ ; -- Begin function _Z13reduce_kernelILj377ELN6hipcub20BlockReduceAlgorithmE1EhEvPT1_S3_
	.globl	_Z13reduce_kernelILj377ELN6hipcub20BlockReduceAlgorithmE1EhEvPT1_S3_
	.p2align	8
	.type	_Z13reduce_kernelILj377ELN6hipcub20BlockReduceAlgorithmE1EhEvPT1_S3_,@function
_Z13reduce_kernelILj377ELN6hipcub20BlockReduceAlgorithmE1EhEvPT1_S3_: ; @_Z13reduce_kernelILj377ELN6hipcub20BlockReduceAlgorithmE1EhEvPT1_S3_
; %bb.0:
	s_load_dwordx4 s[0:3], s[4:5], 0x0
	s_mul_i32 s4, s6, 0x179
	v_add_u32_e32 v1, s4, v0
	v_cmp_gt_u32_e32 vcc, 63, v0
	s_waitcnt lgkmcnt(0)
	global_load_ubyte v1, v1, s[0:1]
	s_waitcnt vmcnt(0)
	ds_write_b8 v0, v1
	s_waitcnt lgkmcnt(0)
	s_barrier
	s_and_saveexec_b64 s[4:5], vcc
	s_cbranch_execnz .LBB12_3
; %bb.1:
	s_or_b64 exec, exec, s[4:5]
	v_cmp_eq_u32_e32 vcc, 0, v0
	s_and_saveexec_b64 s[0:1], vcc
	s_cbranch_execnz .LBB12_6
.LBB12_2:
	s_endpgm
.LBB12_3:
	v_mad_u32_u24 v1, v0, 5, v0
	ds_read_b32 v2, v1
	ds_read_u8 v1, v1 offset:4
	v_cmp_ne_u32_e32 vcc, 62, v0
	s_waitcnt lgkmcnt(1)
	v_add_u16_sdwa v3, v2, v2 dst_sel:BYTE_1 dst_unused:UNUSED_PAD src0_sel:BYTE_1 src1_sel:BYTE_3
	v_add_u16_sdwa v2, v2, v2 dst_sel:DWORD dst_unused:UNUSED_PAD src0_sel:DWORD src1_sel:WORD_1
	v_or_b32_sdwa v2, v2, v3 dst_sel:DWORD dst_unused:UNUSED_PAD src0_sel:BYTE_0 src1_sel:DWORD
	v_lshrrev_b32_e32 v3, 8, v3
	v_add_u16_e32 v2, v2, v3
	s_waitcnt lgkmcnt(0)
	v_add_u16_e32 v1, v2, v1
	s_and_saveexec_b64 s[0:1], vcc
	s_cbranch_execz .LBB12_5
; %bb.4:
	v_mul_u32_u24_e32 v2, 5, v0
	v_add_u32_e32 v2, v0, v2
	ds_read_u8 v2, v2 offset:5
	s_waitcnt lgkmcnt(0)
	v_add_u16_e32 v1, v2, v1
.LBB12_5:
	s_or_b64 exec, exec, s[0:1]
	v_mbcnt_lo_u32_b32 v2, -1, 0
	v_mbcnt_hi_u32_b32 v2, -1, v2
	v_and_b32_e32 v3, 63, v2
	v_cmp_ne_u32_e32 vcc, 63, v3
	v_addc_co_u32_e32 v4, vcc, 0, v2, vcc
	v_lshlrev_b32_e32 v4, 2, v4
	v_and_b32_e32 v5, 0xff, v1
	ds_bpermute_b32 v4, v4, v5
	v_add_u32_e32 v6, 1, v2
	v_cmp_gt_u32_e64 s[0:1], 62, v3
	v_cmp_gt_u32_e32 vcc, 63, v6
	v_cndmask_b32_e64 v6, 0, 2, s[0:1]
	s_waitcnt lgkmcnt(0)
	v_add_u16_e32 v4, v1, v4
	v_and_b32_e32 v7, 0xff, v4
	v_cndmask_b32_e32 v5, v5, v7, vcc
	v_add_lshl_u32 v6, v6, v2, 2
	ds_bpermute_b32 v6, v6, v5
	v_cndmask_b32_e32 v4, v1, v4, vcc
	v_add_u32_e32 v7, 2, v2
	v_cmp_gt_u32_e64 s[0:1], 60, v3
	v_cmp_gt_u32_e32 vcc, 63, v7
	s_waitcnt lgkmcnt(0)
	v_add_u16_e32 v6, v4, v6
	v_and_b32_e32 v8, 0xff, v6
	v_cndmask_b32_e64 v7, 0, 4, s[0:1]
	v_cndmask_b32_e32 v5, v5, v8, vcc
	v_add_lshl_u32 v7, v7, v2, 2
	ds_bpermute_b32 v7, v7, v5
	v_cndmask_b32_e32 v4, v4, v6, vcc
	v_add_u32_e32 v6, 4, v2
	v_cmp_gt_u32_e64 s[0:1], 56, v3
	v_cmp_gt_u32_e32 vcc, 63, v6
	s_waitcnt lgkmcnt(0)
	v_add_u16_e32 v7, v4, v7
	v_and_b32_e32 v8, 0xff, v7
	v_cndmask_b32_e64 v6, 0, 8, s[0:1]
	;; [unrolled: 11-line block ×3, first 2 shown]
	v_cndmask_b32_e32 v5, v5, v8, vcc
	v_add_lshl_u32 v3, v3, v2, 2
	ds_bpermute_b32 v3, v3, v5
	v_cndmask_b32_e32 v4, v4, v6, vcc
	v_add_u32_e32 v6, 16, v2
	v_cmp_gt_u32_e32 vcc, 63, v6
	v_mov_b32_e32 v6, 0x80
	s_waitcnt lgkmcnt(0)
	v_add_u16_e32 v3, v4, v3
	v_and_b32_e32 v7, 0xff, v3
	v_cndmask_b32_e32 v5, v5, v7, vcc
	v_lshl_or_b32 v6, v2, 2, v6
	ds_bpermute_b32 v5, v6, v5
	v_add_u32_e32 v2, 32, v2
	v_cndmask_b32_e32 v3, v4, v3, vcc
	v_cmp_gt_u32_e32 vcc, 63, v2
	s_movk_i32 s0, 0x5e
	s_waitcnt lgkmcnt(0)
	v_cndmask_b32_e32 v4, 0, v5, vcc
	v_add_u16_e32 v3, v3, v4
	v_cmp_gt_u32_e32 vcc, s0, v2
	v_cndmask_b32_e32 v1, v1, v3, vcc
	s_or_b64 exec, exec, s[4:5]
	v_cmp_eq_u32_e32 vcc, 0, v0
	s_and_saveexec_b64 s[0:1], vcc
	s_cbranch_execz .LBB12_2
.LBB12_6:
	v_mov_b32_e32 v0, s6
	global_store_byte v0, v1, s[2:3]
	s_endpgm
	.section	.rodata,"a",@progbits
	.p2align	6, 0x0
	.amdhsa_kernel _Z13reduce_kernelILj377ELN6hipcub20BlockReduceAlgorithmE1EhEvPT1_S3_
		.amdhsa_group_segment_fixed_size 377
		.amdhsa_private_segment_fixed_size 0
		.amdhsa_kernarg_size 16
		.amdhsa_user_sgpr_count 6
		.amdhsa_user_sgpr_private_segment_buffer 1
		.amdhsa_user_sgpr_dispatch_ptr 0
		.amdhsa_user_sgpr_queue_ptr 0
		.amdhsa_user_sgpr_kernarg_segment_ptr 1
		.amdhsa_user_sgpr_dispatch_id 0
		.amdhsa_user_sgpr_flat_scratch_init 0
		.amdhsa_user_sgpr_private_segment_size 0
		.amdhsa_uses_dynamic_stack 0
		.amdhsa_system_sgpr_private_segment_wavefront_offset 0
		.amdhsa_system_sgpr_workgroup_id_x 1
		.amdhsa_system_sgpr_workgroup_id_y 0
		.amdhsa_system_sgpr_workgroup_id_z 0
		.amdhsa_system_sgpr_workgroup_info 0
		.amdhsa_system_vgpr_workitem_id 0
		.amdhsa_next_free_vgpr 9
		.amdhsa_next_free_sgpr 7
		.amdhsa_reserve_vcc 1
		.amdhsa_reserve_flat_scratch 0
		.amdhsa_float_round_mode_32 0
		.amdhsa_float_round_mode_16_64 0
		.amdhsa_float_denorm_mode_32 3
		.amdhsa_float_denorm_mode_16_64 3
		.amdhsa_dx10_clamp 1
		.amdhsa_ieee_mode 1
		.amdhsa_fp16_overflow 0
		.amdhsa_exception_fp_ieee_invalid_op 0
		.amdhsa_exception_fp_denorm_src 0
		.amdhsa_exception_fp_ieee_div_zero 0
		.amdhsa_exception_fp_ieee_overflow 0
		.amdhsa_exception_fp_ieee_underflow 0
		.amdhsa_exception_fp_ieee_inexact 0
		.amdhsa_exception_int_div_zero 0
	.end_amdhsa_kernel
	.section	.text._Z13reduce_kernelILj377ELN6hipcub20BlockReduceAlgorithmE1EhEvPT1_S3_,"axG",@progbits,_Z13reduce_kernelILj377ELN6hipcub20BlockReduceAlgorithmE1EhEvPT1_S3_,comdat
.Lfunc_end12:
	.size	_Z13reduce_kernelILj377ELN6hipcub20BlockReduceAlgorithmE1EhEvPT1_S3_, .Lfunc_end12-_Z13reduce_kernelILj377ELN6hipcub20BlockReduceAlgorithmE1EhEvPT1_S3_
                                        ; -- End function
	.set _Z13reduce_kernelILj377ELN6hipcub20BlockReduceAlgorithmE1EhEvPT1_S3_.num_vgpr, 9
	.set _Z13reduce_kernelILj377ELN6hipcub20BlockReduceAlgorithmE1EhEvPT1_S3_.num_agpr, 0
	.set _Z13reduce_kernelILj377ELN6hipcub20BlockReduceAlgorithmE1EhEvPT1_S3_.numbered_sgpr, 7
	.set _Z13reduce_kernelILj377ELN6hipcub20BlockReduceAlgorithmE1EhEvPT1_S3_.num_named_barrier, 0
	.set _Z13reduce_kernelILj377ELN6hipcub20BlockReduceAlgorithmE1EhEvPT1_S3_.private_seg_size, 0
	.set _Z13reduce_kernelILj377ELN6hipcub20BlockReduceAlgorithmE1EhEvPT1_S3_.uses_vcc, 1
	.set _Z13reduce_kernelILj377ELN6hipcub20BlockReduceAlgorithmE1EhEvPT1_S3_.uses_flat_scratch, 0
	.set _Z13reduce_kernelILj377ELN6hipcub20BlockReduceAlgorithmE1EhEvPT1_S3_.has_dyn_sized_stack, 0
	.set _Z13reduce_kernelILj377ELN6hipcub20BlockReduceAlgorithmE1EhEvPT1_S3_.has_recursion, 0
	.set _Z13reduce_kernelILj377ELN6hipcub20BlockReduceAlgorithmE1EhEvPT1_S3_.has_indirect_call, 0
	.section	.AMDGPU.csdata,"",@progbits
; Kernel info:
; codeLenInByte = 616
; TotalNumSgprs: 11
; NumVgprs: 9
; ScratchSize: 0
; MemoryBound: 0
; FloatMode: 240
; IeeeMode: 1
; LDSByteSize: 377 bytes/workgroup (compile time only)
; SGPRBlocks: 1
; VGPRBlocks: 2
; NumSGPRsForWavesPerEU: 11
; NumVGPRsForWavesPerEU: 9
; Occupancy: 10
; WaveLimiterHint : 0
; COMPUTE_PGM_RSRC2:SCRATCH_EN: 0
; COMPUTE_PGM_RSRC2:USER_SGPR: 6
; COMPUTE_PGM_RSRC2:TRAP_HANDLER: 0
; COMPUTE_PGM_RSRC2:TGID_X_EN: 1
; COMPUTE_PGM_RSRC2:TGID_Y_EN: 0
; COMPUTE_PGM_RSRC2:TGID_Z_EN: 0
; COMPUTE_PGM_RSRC2:TIDIG_COMP_CNT: 0
	.section	.text._Z13reduce_kernelILj377ELN6hipcub20BlockReduceAlgorithmE1EiEvPT1_S3_,"axG",@progbits,_Z13reduce_kernelILj377ELN6hipcub20BlockReduceAlgorithmE1EiEvPT1_S3_,comdat
	.protected	_Z13reduce_kernelILj377ELN6hipcub20BlockReduceAlgorithmE1EiEvPT1_S3_ ; -- Begin function _Z13reduce_kernelILj377ELN6hipcub20BlockReduceAlgorithmE1EiEvPT1_S3_
	.globl	_Z13reduce_kernelILj377ELN6hipcub20BlockReduceAlgorithmE1EiEvPT1_S3_
	.p2align	8
	.type	_Z13reduce_kernelILj377ELN6hipcub20BlockReduceAlgorithmE1EiEvPT1_S3_,@function
_Z13reduce_kernelILj377ELN6hipcub20BlockReduceAlgorithmE1EiEvPT1_S3_: ; @_Z13reduce_kernelILj377ELN6hipcub20BlockReduceAlgorithmE1EiEvPT1_S3_
; %bb.0:
	s_load_dwordx4 s[0:3], s[4:5], 0x0
	s_mul_i32 s4, s6, 0x179
	v_add_u32_e32 v1, s4, v0
	v_mov_b32_e32 v2, 0
	v_lshlrev_b64 v[1:2], 2, v[1:2]
	s_waitcnt lgkmcnt(0)
	v_mov_b32_e32 v3, s1
	v_add_co_u32_e32 v1, vcc, s0, v1
	v_addc_co_u32_e32 v2, vcc, v3, v2, vcc
	global_load_dword v1, v[1:2], off
	v_lshlrev_b32_e32 v2, 2, v0
	v_cmp_gt_u32_e32 vcc, 63, v0
	s_waitcnt vmcnt(0)
	ds_write_b32 v2, v1
	s_waitcnt lgkmcnt(0)
	s_barrier
	s_and_saveexec_b64 s[0:1], vcc
	s_cbranch_execz .LBB13_4
; %bb.1:
	v_mad_u32_u24 v1, v0, 20, v2
	ds_read2_b32 v[3:4], v1 offset1:1
	ds_read2_b32 v[5:6], v1 offset0:2 offset1:3
	ds_read_b32 v1, v1 offset:16
	v_cmp_ne_u32_e32 vcc, 62, v0
	s_waitcnt lgkmcnt(1)
	v_add3_u32 v3, v4, v3, v5
	s_waitcnt lgkmcnt(0)
	v_add3_u32 v1, v3, v6, v1
	s_and_saveexec_b64 s[4:5], vcc
	s_cbranch_execz .LBB13_3
; %bb.2:
	v_mul_u32_u24_e32 v3, 20, v0
	v_add_u32_e32 v2, v2, v3
	ds_read_b32 v2, v2 offset:20
	s_waitcnt lgkmcnt(0)
	v_add_u32_e32 v1, v2, v1
.LBB13_3:
	s_or_b64 exec, exec, s[4:5]
	v_mbcnt_lo_u32_b32 v2, -1, 0
	v_mbcnt_hi_u32_b32 v2, -1, v2
	v_and_b32_e32 v3, 63, v2
	v_cmp_ne_u32_e32 vcc, 63, v3
	v_addc_co_u32_e32 v4, vcc, 0, v2, vcc
	v_lshlrev_b32_e32 v4, 2, v4
	ds_bpermute_b32 v4, v4, v1
	v_add_u32_e32 v5, 1, v2
	v_cmp_gt_u32_e32 vcc, 63, v5
	v_add_u32_e32 v5, 2, v2
	s_waitcnt lgkmcnt(0)
	v_cndmask_b32_e32 v4, 0, v4, vcc
	v_cmp_gt_u32_e32 vcc, 62, v3
	v_add_u32_e32 v1, v4, v1
	v_cndmask_b32_e64 v4, 0, 2, vcc
	v_add_lshl_u32 v4, v4, v2, 2
	ds_bpermute_b32 v4, v4, v1
	v_cmp_gt_u32_e32 vcc, 63, v5
	v_add_u32_e32 v5, 4, v2
	s_waitcnt lgkmcnt(0)
	v_cndmask_b32_e32 v4, 0, v4, vcc
	v_cmp_gt_u32_e32 vcc, 60, v3
	v_add_u32_e32 v1, v1, v4
	v_cndmask_b32_e64 v4, 0, 4, vcc
	v_add_lshl_u32 v4, v4, v2, 2
	ds_bpermute_b32 v4, v4, v1
	;; [unrolled: 9-line block ×3, first 2 shown]
	v_cmp_gt_u32_e32 vcc, 63, v5
	s_waitcnt lgkmcnt(0)
	v_cndmask_b32_e32 v4, 0, v4, vcc
	v_cmp_gt_u32_e32 vcc, 48, v3
	v_cndmask_b32_e64 v3, 0, 16, vcc
	v_add_u32_e32 v1, v1, v4
	v_add_lshl_u32 v3, v3, v2, 2
	ds_bpermute_b32 v3, v3, v1
	v_add_u32_e32 v4, 16, v2
	v_cmp_gt_u32_e32 vcc, 63, v4
	s_waitcnt lgkmcnt(0)
	v_cndmask_b32_e32 v3, 0, v3, vcc
	v_add_u32_e32 v1, v1, v3
	v_mov_b32_e32 v3, 0x80
	v_lshl_or_b32 v3, v2, 2, v3
	ds_bpermute_b32 v3, v3, v1
	v_add_u32_e32 v2, 32, v2
	v_cmp_gt_u32_e32 vcc, 63, v2
	s_waitcnt lgkmcnt(0)
	v_cndmask_b32_e32 v2, 0, v3, vcc
	v_add_u32_e32 v1, v1, v2
.LBB13_4:
	s_or_b64 exec, exec, s[0:1]
	s_mov_b32 s7, 0
	v_cmp_eq_u32_e32 vcc, 0, v0
	s_and_saveexec_b64 s[0:1], vcc
	s_cbranch_execz .LBB13_6
; %bb.5:
	s_lshl_b64 s[0:1], s[6:7], 2
	s_add_u32 s0, s2, s0
	s_addc_u32 s1, s3, s1
	v_mov_b32_e32 v0, 0
	global_store_dword v0, v1, s[0:1]
.LBB13_6:
	s_endpgm
	.section	.rodata,"a",@progbits
	.p2align	6, 0x0
	.amdhsa_kernel _Z13reduce_kernelILj377ELN6hipcub20BlockReduceAlgorithmE1EiEvPT1_S3_
		.amdhsa_group_segment_fixed_size 1508
		.amdhsa_private_segment_fixed_size 0
		.amdhsa_kernarg_size 16
		.amdhsa_user_sgpr_count 6
		.amdhsa_user_sgpr_private_segment_buffer 1
		.amdhsa_user_sgpr_dispatch_ptr 0
		.amdhsa_user_sgpr_queue_ptr 0
		.amdhsa_user_sgpr_kernarg_segment_ptr 1
		.amdhsa_user_sgpr_dispatch_id 0
		.amdhsa_user_sgpr_flat_scratch_init 0
		.amdhsa_user_sgpr_private_segment_size 0
		.amdhsa_uses_dynamic_stack 0
		.amdhsa_system_sgpr_private_segment_wavefront_offset 0
		.amdhsa_system_sgpr_workgroup_id_x 1
		.amdhsa_system_sgpr_workgroup_id_y 0
		.amdhsa_system_sgpr_workgroup_id_z 0
		.amdhsa_system_sgpr_workgroup_info 0
		.amdhsa_system_vgpr_workitem_id 0
		.amdhsa_next_free_vgpr 7
		.amdhsa_next_free_sgpr 8
		.amdhsa_reserve_vcc 1
		.amdhsa_reserve_flat_scratch 0
		.amdhsa_float_round_mode_32 0
		.amdhsa_float_round_mode_16_64 0
		.amdhsa_float_denorm_mode_32 3
		.amdhsa_float_denorm_mode_16_64 3
		.amdhsa_dx10_clamp 1
		.amdhsa_ieee_mode 1
		.amdhsa_fp16_overflow 0
		.amdhsa_exception_fp_ieee_invalid_op 0
		.amdhsa_exception_fp_denorm_src 0
		.amdhsa_exception_fp_ieee_div_zero 0
		.amdhsa_exception_fp_ieee_overflow 0
		.amdhsa_exception_fp_ieee_underflow 0
		.amdhsa_exception_fp_ieee_inexact 0
		.amdhsa_exception_int_div_zero 0
	.end_amdhsa_kernel
	.section	.text._Z13reduce_kernelILj377ELN6hipcub20BlockReduceAlgorithmE1EiEvPT1_S3_,"axG",@progbits,_Z13reduce_kernelILj377ELN6hipcub20BlockReduceAlgorithmE1EiEvPT1_S3_,comdat
.Lfunc_end13:
	.size	_Z13reduce_kernelILj377ELN6hipcub20BlockReduceAlgorithmE1EiEvPT1_S3_, .Lfunc_end13-_Z13reduce_kernelILj377ELN6hipcub20BlockReduceAlgorithmE1EiEvPT1_S3_
                                        ; -- End function
	.set _Z13reduce_kernelILj377ELN6hipcub20BlockReduceAlgorithmE1EiEvPT1_S3_.num_vgpr, 7
	.set _Z13reduce_kernelILj377ELN6hipcub20BlockReduceAlgorithmE1EiEvPT1_S3_.num_agpr, 0
	.set _Z13reduce_kernelILj377ELN6hipcub20BlockReduceAlgorithmE1EiEvPT1_S3_.numbered_sgpr, 8
	.set _Z13reduce_kernelILj377ELN6hipcub20BlockReduceAlgorithmE1EiEvPT1_S3_.num_named_barrier, 0
	.set _Z13reduce_kernelILj377ELN6hipcub20BlockReduceAlgorithmE1EiEvPT1_S3_.private_seg_size, 0
	.set _Z13reduce_kernelILj377ELN6hipcub20BlockReduceAlgorithmE1EiEvPT1_S3_.uses_vcc, 1
	.set _Z13reduce_kernelILj377ELN6hipcub20BlockReduceAlgorithmE1EiEvPT1_S3_.uses_flat_scratch, 0
	.set _Z13reduce_kernelILj377ELN6hipcub20BlockReduceAlgorithmE1EiEvPT1_S3_.has_dyn_sized_stack, 0
	.set _Z13reduce_kernelILj377ELN6hipcub20BlockReduceAlgorithmE1EiEvPT1_S3_.has_recursion, 0
	.set _Z13reduce_kernelILj377ELN6hipcub20BlockReduceAlgorithmE1EiEvPT1_S3_.has_indirect_call, 0
	.section	.AMDGPU.csdata,"",@progbits
; Kernel info:
; codeLenInByte = 532
; TotalNumSgprs: 12
; NumVgprs: 7
; ScratchSize: 0
; MemoryBound: 0
; FloatMode: 240
; IeeeMode: 1
; LDSByteSize: 1508 bytes/workgroup (compile time only)
; SGPRBlocks: 1
; VGPRBlocks: 1
; NumSGPRsForWavesPerEU: 12
; NumVGPRsForWavesPerEU: 7
; Occupancy: 10
; WaveLimiterHint : 0
; COMPUTE_PGM_RSRC2:SCRATCH_EN: 0
; COMPUTE_PGM_RSRC2:USER_SGPR: 6
; COMPUTE_PGM_RSRC2:TRAP_HANDLER: 0
; COMPUTE_PGM_RSRC2:TGID_X_EN: 1
; COMPUTE_PGM_RSRC2:TGID_Y_EN: 0
; COMPUTE_PGM_RSRC2:TGID_Z_EN: 0
; COMPUTE_PGM_RSRC2:TIDIG_COMP_CNT: 0
	.section	.text._Z13reduce_kernelILj255ELN6hipcub20BlockReduceAlgorithmE1EjEvPT1_S3_,"axG",@progbits,_Z13reduce_kernelILj255ELN6hipcub20BlockReduceAlgorithmE1EjEvPT1_S3_,comdat
	.protected	_Z13reduce_kernelILj255ELN6hipcub20BlockReduceAlgorithmE1EjEvPT1_S3_ ; -- Begin function _Z13reduce_kernelILj255ELN6hipcub20BlockReduceAlgorithmE1EjEvPT1_S3_
	.globl	_Z13reduce_kernelILj255ELN6hipcub20BlockReduceAlgorithmE1EjEvPT1_S3_
	.p2align	8
	.type	_Z13reduce_kernelILj255ELN6hipcub20BlockReduceAlgorithmE1EjEvPT1_S3_,@function
_Z13reduce_kernelILj255ELN6hipcub20BlockReduceAlgorithmE1EjEvPT1_S3_: ; @_Z13reduce_kernelILj255ELN6hipcub20BlockReduceAlgorithmE1EjEvPT1_S3_
; %bb.0:
	s_load_dwordx4 s[0:3], s[4:5], 0x0
	s_mul_i32 s4, s6, 0xff
	v_add_u32_e32 v1, s4, v0
	v_mov_b32_e32 v2, 0
	v_lshlrev_b64 v[1:2], 2, v[1:2]
	s_waitcnt lgkmcnt(0)
	v_mov_b32_e32 v3, s1
	v_add_co_u32_e32 v1, vcc, s0, v1
	v_addc_co_u32_e32 v2, vcc, v3, v2, vcc
	global_load_dword v1, v[1:2], off
	s_movk_i32 s4, 0xff
	v_lshlrev_b32_e32 v2, 2, v0
	v_cmp_gt_u32_e32 vcc, 64, v0
	s_waitcnt vmcnt(0)
	ds_write_b32 v2, v1
	s_waitcnt lgkmcnt(0)
	s_barrier
	s_and_saveexec_b64 s[0:1], vcc
	s_cbranch_execz .LBB14_4
; %bb.1:
	v_mad_u32_u24 v1, v0, 12, v2
	ds_read2_b32 v[3:4], v1 offset1:1
	ds_read_b32 v1, v1 offset:8
	v_lshl_or_b32 v5, v0, 2, 3
	v_cmp_gt_u32_e32 vcc, s4, v5
	s_waitcnt lgkmcnt(0)
	v_add3_u32 v1, v4, v3, v1
	s_and_saveexec_b64 s[4:5], vcc
	s_cbranch_execz .LBB14_3
; %bb.2:
	v_mul_u32_u24_e32 v3, 12, v0
	v_add_u32_e32 v2, v2, v3
	ds_read_b32 v2, v2 offset:12
	s_waitcnt lgkmcnt(0)
	v_add_u32_e32 v1, v2, v1
.LBB14_3:
	s_or_b64 exec, exec, s[4:5]
	v_mbcnt_lo_u32_b32 v2, -1, 0
	v_mbcnt_hi_u32_b32 v2, -1, v2
	v_and_b32_e32 v3, 63, v2
	v_cmp_ne_u32_e32 vcc, 63, v3
	v_addc_co_u32_e32 v4, vcc, 0, v2, vcc
	v_lshlrev_b32_e32 v4, 2, v4
	ds_bpermute_b32 v4, v4, v1
	v_add_u32_e32 v5, 1, v2
	v_cmp_gt_u32_e32 vcc, 64, v5
	v_add_u32_e32 v5, 2, v2
	s_waitcnt lgkmcnt(0)
	v_cndmask_b32_e32 v4, 0, v4, vcc
	v_cmp_gt_u32_e32 vcc, 62, v3
	v_add_u32_e32 v1, v4, v1
	v_cndmask_b32_e64 v4, 0, 2, vcc
	v_add_lshl_u32 v4, v4, v2, 2
	ds_bpermute_b32 v4, v4, v1
	v_cmp_gt_u32_e32 vcc, 64, v5
	v_add_u32_e32 v5, 4, v2
	s_waitcnt lgkmcnt(0)
	v_cndmask_b32_e32 v4, 0, v4, vcc
	v_cmp_gt_u32_e32 vcc, 60, v3
	v_add_u32_e32 v1, v1, v4
	v_cndmask_b32_e64 v4, 0, 4, vcc
	v_add_lshl_u32 v4, v4, v2, 2
	ds_bpermute_b32 v4, v4, v1
	;; [unrolled: 9-line block ×3, first 2 shown]
	v_cmp_gt_u32_e32 vcc, 64, v5
	s_waitcnt lgkmcnt(0)
	v_cndmask_b32_e32 v4, 0, v4, vcc
	v_cmp_gt_u32_e32 vcc, 48, v3
	v_cndmask_b32_e64 v3, 0, 16, vcc
	v_add_u32_e32 v1, v1, v4
	v_add_lshl_u32 v3, v3, v2, 2
	ds_bpermute_b32 v3, v3, v1
	v_add_u32_e32 v4, 16, v2
	v_cmp_gt_u32_e32 vcc, 64, v4
	s_waitcnt lgkmcnt(0)
	v_cndmask_b32_e32 v3, 0, v3, vcc
	v_add_u32_e32 v1, v1, v3
	v_mov_b32_e32 v3, 0x80
	v_lshl_or_b32 v3, v2, 2, v3
	ds_bpermute_b32 v3, v3, v1
	v_add_u32_e32 v2, 32, v2
	v_cmp_gt_u32_e32 vcc, 64, v2
	s_waitcnt lgkmcnt(0)
	v_cndmask_b32_e32 v2, 0, v3, vcc
	v_add_u32_e32 v1, v1, v2
.LBB14_4:
	s_or_b64 exec, exec, s[0:1]
	s_mov_b32 s7, 0
	v_cmp_eq_u32_e32 vcc, 0, v0
	s_and_saveexec_b64 s[0:1], vcc
	s_cbranch_execz .LBB14_6
; %bb.5:
	s_lshl_b64 s[0:1], s[6:7], 2
	s_add_u32 s0, s2, s0
	s_addc_u32 s1, s3, s1
	v_mov_b32_e32 v0, 0
	global_store_dword v0, v1, s[0:1]
.LBB14_6:
	s_endpgm
	.section	.rodata,"a",@progbits
	.p2align	6, 0x0
	.amdhsa_kernel _Z13reduce_kernelILj255ELN6hipcub20BlockReduceAlgorithmE1EjEvPT1_S3_
		.amdhsa_group_segment_fixed_size 1020
		.amdhsa_private_segment_fixed_size 0
		.amdhsa_kernarg_size 16
		.amdhsa_user_sgpr_count 6
		.amdhsa_user_sgpr_private_segment_buffer 1
		.amdhsa_user_sgpr_dispatch_ptr 0
		.amdhsa_user_sgpr_queue_ptr 0
		.amdhsa_user_sgpr_kernarg_segment_ptr 1
		.amdhsa_user_sgpr_dispatch_id 0
		.amdhsa_user_sgpr_flat_scratch_init 0
		.amdhsa_user_sgpr_private_segment_size 0
		.amdhsa_uses_dynamic_stack 0
		.amdhsa_system_sgpr_private_segment_wavefront_offset 0
		.amdhsa_system_sgpr_workgroup_id_x 1
		.amdhsa_system_sgpr_workgroup_id_y 0
		.amdhsa_system_sgpr_workgroup_id_z 0
		.amdhsa_system_sgpr_workgroup_info 0
		.amdhsa_system_vgpr_workitem_id 0
		.amdhsa_next_free_vgpr 6
		.amdhsa_next_free_sgpr 8
		.amdhsa_reserve_vcc 1
		.amdhsa_reserve_flat_scratch 0
		.amdhsa_float_round_mode_32 0
		.amdhsa_float_round_mode_16_64 0
		.amdhsa_float_denorm_mode_32 3
		.amdhsa_float_denorm_mode_16_64 3
		.amdhsa_dx10_clamp 1
		.amdhsa_ieee_mode 1
		.amdhsa_fp16_overflow 0
		.amdhsa_exception_fp_ieee_invalid_op 0
		.amdhsa_exception_fp_denorm_src 0
		.amdhsa_exception_fp_ieee_div_zero 0
		.amdhsa_exception_fp_ieee_overflow 0
		.amdhsa_exception_fp_ieee_underflow 0
		.amdhsa_exception_fp_ieee_inexact 0
		.amdhsa_exception_int_div_zero 0
	.end_amdhsa_kernel
	.section	.text._Z13reduce_kernelILj255ELN6hipcub20BlockReduceAlgorithmE1EjEvPT1_S3_,"axG",@progbits,_Z13reduce_kernelILj255ELN6hipcub20BlockReduceAlgorithmE1EjEvPT1_S3_,comdat
.Lfunc_end14:
	.size	_Z13reduce_kernelILj255ELN6hipcub20BlockReduceAlgorithmE1EjEvPT1_S3_, .Lfunc_end14-_Z13reduce_kernelILj255ELN6hipcub20BlockReduceAlgorithmE1EjEvPT1_S3_
                                        ; -- End function
	.set _Z13reduce_kernelILj255ELN6hipcub20BlockReduceAlgorithmE1EjEvPT1_S3_.num_vgpr, 6
	.set _Z13reduce_kernelILj255ELN6hipcub20BlockReduceAlgorithmE1EjEvPT1_S3_.num_agpr, 0
	.set _Z13reduce_kernelILj255ELN6hipcub20BlockReduceAlgorithmE1EjEvPT1_S3_.numbered_sgpr, 8
	.set _Z13reduce_kernelILj255ELN6hipcub20BlockReduceAlgorithmE1EjEvPT1_S3_.num_named_barrier, 0
	.set _Z13reduce_kernelILj255ELN6hipcub20BlockReduceAlgorithmE1EjEvPT1_S3_.private_seg_size, 0
	.set _Z13reduce_kernelILj255ELN6hipcub20BlockReduceAlgorithmE1EjEvPT1_S3_.uses_vcc, 1
	.set _Z13reduce_kernelILj255ELN6hipcub20BlockReduceAlgorithmE1EjEvPT1_S3_.uses_flat_scratch, 0
	.set _Z13reduce_kernelILj255ELN6hipcub20BlockReduceAlgorithmE1EjEvPT1_S3_.has_dyn_sized_stack, 0
	.set _Z13reduce_kernelILj255ELN6hipcub20BlockReduceAlgorithmE1EjEvPT1_S3_.has_recursion, 0
	.set _Z13reduce_kernelILj255ELN6hipcub20BlockReduceAlgorithmE1EjEvPT1_S3_.has_indirect_call, 0
	.section	.AMDGPU.csdata,"",@progbits
; Kernel info:
; codeLenInByte = 524
; TotalNumSgprs: 12
; NumVgprs: 6
; ScratchSize: 0
; MemoryBound: 0
; FloatMode: 240
; IeeeMode: 1
; LDSByteSize: 1020 bytes/workgroup (compile time only)
; SGPRBlocks: 1
; VGPRBlocks: 1
; NumSGPRsForWavesPerEU: 12
; NumVGPRsForWavesPerEU: 6
; Occupancy: 10
; WaveLimiterHint : 0
; COMPUTE_PGM_RSRC2:SCRATCH_EN: 0
; COMPUTE_PGM_RSRC2:USER_SGPR: 6
; COMPUTE_PGM_RSRC2:TRAP_HANDLER: 0
; COMPUTE_PGM_RSRC2:TGID_X_EN: 1
; COMPUTE_PGM_RSRC2:TGID_Y_EN: 0
; COMPUTE_PGM_RSRC2:TGID_Z_EN: 0
; COMPUTE_PGM_RSRC2:TIDIG_COMP_CNT: 0
	.section	.text._Z13reduce_kernelILj162ELN6hipcub20BlockReduceAlgorithmE1EsEvPT1_S3_,"axG",@progbits,_Z13reduce_kernelILj162ELN6hipcub20BlockReduceAlgorithmE1EsEvPT1_S3_,comdat
	.protected	_Z13reduce_kernelILj162ELN6hipcub20BlockReduceAlgorithmE1EsEvPT1_S3_ ; -- Begin function _Z13reduce_kernelILj162ELN6hipcub20BlockReduceAlgorithmE1EsEvPT1_S3_
	.globl	_Z13reduce_kernelILj162ELN6hipcub20BlockReduceAlgorithmE1EsEvPT1_S3_
	.p2align	8
	.type	_Z13reduce_kernelILj162ELN6hipcub20BlockReduceAlgorithmE1EsEvPT1_S3_,@function
_Z13reduce_kernelILj162ELN6hipcub20BlockReduceAlgorithmE1EsEvPT1_S3_: ; @_Z13reduce_kernelILj162ELN6hipcub20BlockReduceAlgorithmE1EsEvPT1_S3_
; %bb.0:
	s_load_dwordx4 s[0:3], s[4:5], 0x0
	s_mul_i32 s4, s6, 0xa2
	v_add_u32_e32 v1, s4, v0
	v_mov_b32_e32 v2, 0
	v_lshlrev_b64 v[1:2], 1, v[1:2]
	s_waitcnt lgkmcnt(0)
	v_mov_b32_e32 v3, s1
	v_add_co_u32_e32 v1, vcc, s0, v1
	v_addc_co_u32_e32 v2, vcc, v3, v2, vcc
	global_load_ushort v1, v[1:2], off
	v_lshlrev_b32_e32 v2, 1, v0
	v_cmp_gt_u32_e32 vcc, 54, v0
	s_waitcnt vmcnt(0)
	ds_write_b16 v2, v1
	s_waitcnt lgkmcnt(0)
	s_barrier
	s_and_saveexec_b64 s[0:1], vcc
	s_cbranch_execz .LBB15_2
; %bb.1:
	v_lshl_add_u32 v1, v0, 2, v2
	ds_read_u16 v2, v1
	ds_read_u16 v3, v1 offset:2
	ds_read_u16 v1, v1 offset:4
	v_mbcnt_lo_u32_b32 v4, -1, 0
	v_mbcnt_hi_u32_b32 v4, -1, v4
	v_add_u32_e32 v5, 1, v4
	s_waitcnt lgkmcnt(1)
	v_add_u16_e32 v2, v3, v2
	s_waitcnt lgkmcnt(0)
	v_add_u16_e32 v1, v2, v1
	v_and_b32_e32 v2, 63, v4
	v_cmp_ne_u32_e32 vcc, 63, v2
	v_addc_co_u32_e32 v3, vcc, 0, v4, vcc
	v_lshlrev_b32_e32 v3, 2, v3
	ds_bpermute_b32 v3, v3, v1
	v_cmp_gt_u32_e32 vcc, 54, v5
	v_add_u32_e32 v6, 2, v4
	s_movk_i32 s4, 0x55
	s_waitcnt lgkmcnt(0)
	v_add_u16_e32 v3, v1, v3
	v_cndmask_b32_e32 v3, v1, v3, vcc
	v_cmp_gt_u32_e32 vcc, 62, v2
	v_cndmask_b32_e64 v5, 0, 2, vcc
	v_add_lshl_u32 v5, v5, v4, 2
	ds_bpermute_b32 v5, v5, v3
	v_cmp_gt_u32_e32 vcc, 54, v6
	v_add_u32_e32 v6, 4, v4
	s_waitcnt lgkmcnt(0)
	v_add_u16_e32 v5, v3, v5
	v_cndmask_b32_e32 v3, v3, v5, vcc
	v_cmp_gt_u32_e32 vcc, 60, v2
	v_cndmask_b32_e64 v5, 0, 4, vcc
	v_add_lshl_u32 v5, v5, v4, 2
	ds_bpermute_b32 v5, v5, v3
	v_cmp_gt_u32_e32 vcc, 54, v6
	v_add_u32_e32 v6, 8, v4
	s_waitcnt lgkmcnt(0)
	v_add_u16_e32 v5, v3, v5
	v_cndmask_b32_e32 v3, v3, v5, vcc
	v_cmp_gt_u32_e32 vcc, 56, v2
	v_cndmask_b32_e64 v5, 0, 8, vcc
	v_add_lshl_u32 v5, v5, v4, 2
	ds_bpermute_b32 v5, v5, v3
	v_cmp_gt_u32_e32 vcc, 54, v6
	s_waitcnt lgkmcnt(0)
	v_add_u16_e32 v5, v3, v5
	v_cndmask_b32_e32 v3, v3, v5, vcc
	v_cmp_gt_u32_e32 vcc, 48, v2
	v_cndmask_b32_e64 v2, 0, 16, vcc
	v_add_lshl_u32 v2, v2, v4, 2
	ds_bpermute_b32 v2, v2, v3
	v_add_u32_e32 v5, 16, v4
	v_cmp_gt_u32_e32 vcc, 54, v5
	s_waitcnt lgkmcnt(0)
	v_add_u16_e32 v2, v3, v2
	v_cndmask_b32_e32 v2, v3, v2, vcc
	v_mov_b32_e32 v3, 0x80
	v_lshl_or_b32 v3, v4, 2, v3
	ds_bpermute_b32 v3, v3, v2
	v_add_u32_e32 v4, 32, v4
	v_cmp_gt_u32_e32 vcc, 54, v4
	s_waitcnt lgkmcnt(0)
	v_cndmask_b32_e32 v3, 0, v3, vcc
	v_add_u16_e32 v2, v2, v3
	v_cmp_gt_u32_e32 vcc, s4, v4
	v_cndmask_b32_e32 v1, v1, v2, vcc
.LBB15_2:
	s_or_b64 exec, exec, s[0:1]
	s_mov_b32 s7, 0
	v_cmp_eq_u32_e32 vcc, 0, v0
	s_and_saveexec_b64 s[0:1], vcc
	s_cbranch_execz .LBB15_4
; %bb.3:
	s_lshl_b64 s[0:1], s[6:7], 1
	s_add_u32 s0, s2, s0
	s_addc_u32 s1, s3, s1
	v_mov_b32_e32 v0, 0
	global_store_short v0, v1, s[0:1]
.LBB15_4:
	s_endpgm
	.section	.rodata,"a",@progbits
	.p2align	6, 0x0
	.amdhsa_kernel _Z13reduce_kernelILj162ELN6hipcub20BlockReduceAlgorithmE1EsEvPT1_S3_
		.amdhsa_group_segment_fixed_size 324
		.amdhsa_private_segment_fixed_size 0
		.amdhsa_kernarg_size 16
		.amdhsa_user_sgpr_count 6
		.amdhsa_user_sgpr_private_segment_buffer 1
		.amdhsa_user_sgpr_dispatch_ptr 0
		.amdhsa_user_sgpr_queue_ptr 0
		.amdhsa_user_sgpr_kernarg_segment_ptr 1
		.amdhsa_user_sgpr_dispatch_id 0
		.amdhsa_user_sgpr_flat_scratch_init 0
		.amdhsa_user_sgpr_private_segment_size 0
		.amdhsa_uses_dynamic_stack 0
		.amdhsa_system_sgpr_private_segment_wavefront_offset 0
		.amdhsa_system_sgpr_workgroup_id_x 1
		.amdhsa_system_sgpr_workgroup_id_y 0
		.amdhsa_system_sgpr_workgroup_id_z 0
		.amdhsa_system_sgpr_workgroup_info 0
		.amdhsa_system_vgpr_workitem_id 0
		.amdhsa_next_free_vgpr 7
		.amdhsa_next_free_sgpr 8
		.amdhsa_reserve_vcc 1
		.amdhsa_reserve_flat_scratch 0
		.amdhsa_float_round_mode_32 0
		.amdhsa_float_round_mode_16_64 0
		.amdhsa_float_denorm_mode_32 3
		.amdhsa_float_denorm_mode_16_64 3
		.amdhsa_dx10_clamp 1
		.amdhsa_ieee_mode 1
		.amdhsa_fp16_overflow 0
		.amdhsa_exception_fp_ieee_invalid_op 0
		.amdhsa_exception_fp_denorm_src 0
		.amdhsa_exception_fp_ieee_div_zero 0
		.amdhsa_exception_fp_ieee_overflow 0
		.amdhsa_exception_fp_ieee_underflow 0
		.amdhsa_exception_fp_ieee_inexact 0
		.amdhsa_exception_int_div_zero 0
	.end_amdhsa_kernel
	.section	.text._Z13reduce_kernelILj162ELN6hipcub20BlockReduceAlgorithmE1EsEvPT1_S3_,"axG",@progbits,_Z13reduce_kernelILj162ELN6hipcub20BlockReduceAlgorithmE1EsEvPT1_S3_,comdat
.Lfunc_end15:
	.size	_Z13reduce_kernelILj162ELN6hipcub20BlockReduceAlgorithmE1EsEvPT1_S3_, .Lfunc_end15-_Z13reduce_kernelILj162ELN6hipcub20BlockReduceAlgorithmE1EsEvPT1_S3_
                                        ; -- End function
	.set _Z13reduce_kernelILj162ELN6hipcub20BlockReduceAlgorithmE1EsEvPT1_S3_.num_vgpr, 7
	.set _Z13reduce_kernelILj162ELN6hipcub20BlockReduceAlgorithmE1EsEvPT1_S3_.num_agpr, 0
	.set _Z13reduce_kernelILj162ELN6hipcub20BlockReduceAlgorithmE1EsEvPT1_S3_.numbered_sgpr, 8
	.set _Z13reduce_kernelILj162ELN6hipcub20BlockReduceAlgorithmE1EsEvPT1_S3_.num_named_barrier, 0
	.set _Z13reduce_kernelILj162ELN6hipcub20BlockReduceAlgorithmE1EsEvPT1_S3_.private_seg_size, 0
	.set _Z13reduce_kernelILj162ELN6hipcub20BlockReduceAlgorithmE1EsEvPT1_S3_.uses_vcc, 1
	.set _Z13reduce_kernelILj162ELN6hipcub20BlockReduceAlgorithmE1EsEvPT1_S3_.uses_flat_scratch, 0
	.set _Z13reduce_kernelILj162ELN6hipcub20BlockReduceAlgorithmE1EsEvPT1_S3_.has_dyn_sized_stack, 0
	.set _Z13reduce_kernelILj162ELN6hipcub20BlockReduceAlgorithmE1EsEvPT1_S3_.has_recursion, 0
	.set _Z13reduce_kernelILj162ELN6hipcub20BlockReduceAlgorithmE1EsEvPT1_S3_.has_indirect_call, 0
	.section	.AMDGPU.csdata,"",@progbits
; Kernel info:
; codeLenInByte = 496
; TotalNumSgprs: 12
; NumVgprs: 7
; ScratchSize: 0
; MemoryBound: 0
; FloatMode: 240
; IeeeMode: 1
; LDSByteSize: 324 bytes/workgroup (compile time only)
; SGPRBlocks: 1
; VGPRBlocks: 1
; NumSGPRsForWavesPerEU: 12
; NumVGPRsForWavesPerEU: 7
; Occupancy: 10
; WaveLimiterHint : 0
; COMPUTE_PGM_RSRC2:SCRATCH_EN: 0
; COMPUTE_PGM_RSRC2:USER_SGPR: 6
; COMPUTE_PGM_RSRC2:TRAP_HANDLER: 0
; COMPUTE_PGM_RSRC2:TGID_X_EN: 1
; COMPUTE_PGM_RSRC2:TGID_Y_EN: 0
; COMPUTE_PGM_RSRC2:TGID_Z_EN: 0
; COMPUTE_PGM_RSRC2:TIDIG_COMP_CNT: 0
	.section	.text._Z13reduce_kernelILj37ELN6hipcub20BlockReduceAlgorithmE1ElEvPT1_S3_,"axG",@progbits,_Z13reduce_kernelILj37ELN6hipcub20BlockReduceAlgorithmE1ElEvPT1_S3_,comdat
	.protected	_Z13reduce_kernelILj37ELN6hipcub20BlockReduceAlgorithmE1ElEvPT1_S3_ ; -- Begin function _Z13reduce_kernelILj37ELN6hipcub20BlockReduceAlgorithmE1ElEvPT1_S3_
	.globl	_Z13reduce_kernelILj37ELN6hipcub20BlockReduceAlgorithmE1ElEvPT1_S3_
	.p2align	8
	.type	_Z13reduce_kernelILj37ELN6hipcub20BlockReduceAlgorithmE1ElEvPT1_S3_,@function
_Z13reduce_kernelILj37ELN6hipcub20BlockReduceAlgorithmE1ElEvPT1_S3_: ; @_Z13reduce_kernelILj37ELN6hipcub20BlockReduceAlgorithmE1ElEvPT1_S3_
; %bb.0:
	s_load_dwordx4 s[0:3], s[4:5], 0x0
	v_mad_u64_u32 v[1:2], s[4:5], s6, 37, v[0:1]
	v_mov_b32_e32 v2, 0
	v_lshlrev_b64 v[1:2], 3, v[1:2]
	s_waitcnt lgkmcnt(0)
	v_mov_b32_e32 v3, s1
	v_add_co_u32_e32 v1, vcc, s0, v1
	v_addc_co_u32_e32 v2, vcc, v3, v2, vcc
	global_load_dwordx2 v[1:2], v[1:2], off
	v_lshlrev_b32_e32 v3, 2, v0
	v_cmp_gt_u32_e32 vcc, 37, v0
	s_waitcnt vmcnt(0)
	ds_write2_b32 v3, v1, v2 offset1:37
	s_waitcnt lgkmcnt(0)
	; wave barrier
	s_and_saveexec_b64 s[0:1], vcc
	s_cbranch_execz .LBB16_12
; %bb.1:
	ds_read2_b32 v[1:2], v3 offset1:37
	v_mbcnt_lo_u32_b32 v3, -1, 0
	v_mbcnt_hi_u32_b32 v3, -1, v3
	v_and_b32_e32 v5, 63, v3
	v_cmp_ne_u32_e32 vcc, 63, v5
	v_addc_co_u32_e32 v4, vcc, 0, v3, vcc
	v_lshlrev_b32_e32 v4, 2, v4
	s_waitcnt lgkmcnt(0)
	ds_bpermute_b32 v7, v4, v1
	ds_bpermute_b32 v6, v4, v2
	v_add_u32_e32 v4, 1, v3
	v_cmp_gt_u32_e32 vcc, 37, v4
	v_mov_b32_e32 v4, v1
	s_and_saveexec_b64 s[4:5], vcc
	s_cbranch_execz .LBB16_3
; %bb.2:
	s_waitcnt lgkmcnt(1)
	v_add_co_u32_e32 v4, vcc, v1, v7
	v_addc_co_u32_e32 v2, vcc, 0, v2, vcc
	v_add_co_u32_e32 v1, vcc, 0, v4
	s_waitcnt lgkmcnt(0)
	v_addc_co_u32_e32 v2, vcc, v6, v2, vcc
.LBB16_3:
	s_or_b64 exec, exec, s[4:5]
	v_cmp_gt_u32_e32 vcc, 62, v5
	s_waitcnt lgkmcnt(0)
	v_cndmask_b32_e64 v6, 0, 2, vcc
	v_add_lshl_u32 v6, v6, v3, 2
	ds_bpermute_b32 v7, v6, v4
	ds_bpermute_b32 v6, v6, v2
	v_add_u32_e32 v8, 2, v3
	v_cmp_gt_u32_e32 vcc, 37, v8
	s_and_saveexec_b64 s[4:5], vcc
	s_cbranch_execz .LBB16_5
; %bb.4:
	s_waitcnt lgkmcnt(1)
	v_add_co_u32_e32 v4, vcc, v1, v7
	v_addc_co_u32_e32 v2, vcc, 0, v2, vcc
	v_add_co_u32_e32 v1, vcc, 0, v4
	s_waitcnt lgkmcnt(0)
	v_addc_co_u32_e32 v2, vcc, v6, v2, vcc
.LBB16_5:
	s_or_b64 exec, exec, s[4:5]
	v_cmp_gt_u32_e32 vcc, 60, v5
	s_waitcnt lgkmcnt(0)
	v_cndmask_b32_e64 v6, 0, 4, vcc
	v_add_lshl_u32 v6, v6, v3, 2
	ds_bpermute_b32 v7, v6, v4
	ds_bpermute_b32 v6, v6, v2
	v_add_u32_e32 v8, 4, v3
	v_cmp_gt_u32_e32 vcc, 37, v8
	;; [unrolled: 19-line block ×3, first 2 shown]
	s_and_saveexec_b64 s[4:5], vcc
	s_cbranch_execz .LBB16_9
; %bb.8:
	s_waitcnt lgkmcnt(1)
	v_add_co_u32_e32 v4, vcc, v1, v7
	v_addc_co_u32_e32 v2, vcc, 0, v2, vcc
	v_add_co_u32_e32 v1, vcc, 0, v4
	s_waitcnt lgkmcnt(0)
	v_addc_co_u32_e32 v2, vcc, v6, v2, vcc
.LBB16_9:
	s_or_b64 exec, exec, s[4:5]
	v_cmp_gt_u32_e32 vcc, 48, v5
	v_cndmask_b32_e64 v5, 0, 16, vcc
	v_add_lshl_u32 v5, v5, v3, 2
	s_waitcnt lgkmcnt(0)
	ds_bpermute_b32 v6, v5, v4
	ds_bpermute_b32 v5, v5, v2
	v_add_u32_e32 v7, 16, v3
	v_cmp_gt_u32_e32 vcc, 37, v7
	s_and_saveexec_b64 s[4:5], vcc
	s_cbranch_execz .LBB16_11
; %bb.10:
	s_waitcnt lgkmcnt(1)
	v_add_co_u32_e32 v4, vcc, v1, v6
	v_addc_co_u32_e32 v2, vcc, 0, v2, vcc
	v_add_co_u32_e32 v1, vcc, 0, v4
	s_waitcnt lgkmcnt(0)
	v_addc_co_u32_e32 v2, vcc, v5, v2, vcc
.LBB16_11:
	s_or_b64 exec, exec, s[4:5]
	s_waitcnt lgkmcnt(0)
	v_mov_b32_e32 v5, 0x80
	v_lshl_or_b32 v5, v3, 2, v5
	ds_bpermute_b32 v4, v5, v4
	ds_bpermute_b32 v5, v5, v2
	v_add_u32_e32 v3, 32, v3
	s_waitcnt lgkmcnt(1)
	v_add_co_u32_e32 v4, vcc, v1, v4
	v_addc_co_u32_e32 v6, vcc, 0, v2, vcc
	v_add_co_u32_e32 v4, vcc, 0, v4
	s_waitcnt lgkmcnt(0)
	v_addc_co_u32_e32 v5, vcc, v6, v5, vcc
	v_cmp_gt_u32_e32 vcc, 37, v3
	v_cndmask_b32_e32 v2, v2, v5, vcc
	v_cndmask_b32_e32 v1, v1, v4, vcc
.LBB16_12:
	s_or_b64 exec, exec, s[0:1]
	s_mov_b32 s7, 0
	v_cmp_eq_u32_e32 vcc, 0, v0
	s_and_saveexec_b64 s[0:1], vcc
	s_cbranch_execz .LBB16_14
; %bb.13:
	s_lshl_b64 s[0:1], s[6:7], 3
	s_add_u32 s0, s2, s0
	s_addc_u32 s1, s3, s1
	v_mov_b32_e32 v0, 0
	global_store_dwordx2 v0, v[1:2], s[0:1]
.LBB16_14:
	s_endpgm
	.section	.rodata,"a",@progbits
	.p2align	6, 0x0
	.amdhsa_kernel _Z13reduce_kernelILj37ELN6hipcub20BlockReduceAlgorithmE1ElEvPT1_S3_
		.amdhsa_group_segment_fixed_size 296
		.amdhsa_private_segment_fixed_size 0
		.amdhsa_kernarg_size 16
		.amdhsa_user_sgpr_count 6
		.amdhsa_user_sgpr_private_segment_buffer 1
		.amdhsa_user_sgpr_dispatch_ptr 0
		.amdhsa_user_sgpr_queue_ptr 0
		.amdhsa_user_sgpr_kernarg_segment_ptr 1
		.amdhsa_user_sgpr_dispatch_id 0
		.amdhsa_user_sgpr_flat_scratch_init 0
		.amdhsa_user_sgpr_private_segment_size 0
		.amdhsa_uses_dynamic_stack 0
		.amdhsa_system_sgpr_private_segment_wavefront_offset 0
		.amdhsa_system_sgpr_workgroup_id_x 1
		.amdhsa_system_sgpr_workgroup_id_y 0
		.amdhsa_system_sgpr_workgroup_id_z 0
		.amdhsa_system_sgpr_workgroup_info 0
		.amdhsa_system_vgpr_workitem_id 0
		.amdhsa_next_free_vgpr 9
		.amdhsa_next_free_sgpr 8
		.amdhsa_reserve_vcc 1
		.amdhsa_reserve_flat_scratch 0
		.amdhsa_float_round_mode_32 0
		.amdhsa_float_round_mode_16_64 0
		.amdhsa_float_denorm_mode_32 3
		.amdhsa_float_denorm_mode_16_64 3
		.amdhsa_dx10_clamp 1
		.amdhsa_ieee_mode 1
		.amdhsa_fp16_overflow 0
		.amdhsa_exception_fp_ieee_invalid_op 0
		.amdhsa_exception_fp_denorm_src 0
		.amdhsa_exception_fp_ieee_div_zero 0
		.amdhsa_exception_fp_ieee_overflow 0
		.amdhsa_exception_fp_ieee_underflow 0
		.amdhsa_exception_fp_ieee_inexact 0
		.amdhsa_exception_int_div_zero 0
	.end_amdhsa_kernel
	.section	.text._Z13reduce_kernelILj37ELN6hipcub20BlockReduceAlgorithmE1ElEvPT1_S3_,"axG",@progbits,_Z13reduce_kernelILj37ELN6hipcub20BlockReduceAlgorithmE1ElEvPT1_S3_,comdat
.Lfunc_end16:
	.size	_Z13reduce_kernelILj37ELN6hipcub20BlockReduceAlgorithmE1ElEvPT1_S3_, .Lfunc_end16-_Z13reduce_kernelILj37ELN6hipcub20BlockReduceAlgorithmE1ElEvPT1_S3_
                                        ; -- End function
	.set _Z13reduce_kernelILj37ELN6hipcub20BlockReduceAlgorithmE1ElEvPT1_S3_.num_vgpr, 9
	.set _Z13reduce_kernelILj37ELN6hipcub20BlockReduceAlgorithmE1ElEvPT1_S3_.num_agpr, 0
	.set _Z13reduce_kernelILj37ELN6hipcub20BlockReduceAlgorithmE1ElEvPT1_S3_.numbered_sgpr, 8
	.set _Z13reduce_kernelILj37ELN6hipcub20BlockReduceAlgorithmE1ElEvPT1_S3_.num_named_barrier, 0
	.set _Z13reduce_kernelILj37ELN6hipcub20BlockReduceAlgorithmE1ElEvPT1_S3_.private_seg_size, 0
	.set _Z13reduce_kernelILj37ELN6hipcub20BlockReduceAlgorithmE1ElEvPT1_S3_.uses_vcc, 1
	.set _Z13reduce_kernelILj37ELN6hipcub20BlockReduceAlgorithmE1ElEvPT1_S3_.uses_flat_scratch, 0
	.set _Z13reduce_kernelILj37ELN6hipcub20BlockReduceAlgorithmE1ElEvPT1_S3_.has_dyn_sized_stack, 0
	.set _Z13reduce_kernelILj37ELN6hipcub20BlockReduceAlgorithmE1ElEvPT1_S3_.has_recursion, 0
	.set _Z13reduce_kernelILj37ELN6hipcub20BlockReduceAlgorithmE1ElEvPT1_S3_.has_indirect_call, 0
	.section	.AMDGPU.csdata,"",@progbits
; Kernel info:
; codeLenInByte = 652
; TotalNumSgprs: 12
; NumVgprs: 9
; ScratchSize: 0
; MemoryBound: 0
; FloatMode: 240
; IeeeMode: 1
; LDSByteSize: 296 bytes/workgroup (compile time only)
; SGPRBlocks: 1
; VGPRBlocks: 2
; NumSGPRsForWavesPerEU: 12
; NumVGPRsForWavesPerEU: 9
; Occupancy: 10
; WaveLimiterHint : 0
; COMPUTE_PGM_RSRC2:SCRATCH_EN: 0
; COMPUTE_PGM_RSRC2:USER_SGPR: 6
; COMPUTE_PGM_RSRC2:TRAP_HANDLER: 0
; COMPUTE_PGM_RSRC2:TGID_X_EN: 1
; COMPUTE_PGM_RSRC2:TGID_Y_EN: 0
; COMPUTE_PGM_RSRC2:TGID_Z_EN: 0
; COMPUTE_PGM_RSRC2:TIDIG_COMP_CNT: 0
	.section	.text._Z13reduce_kernelILj65ELN6hipcub20BlockReduceAlgorithmE1EmEvPT1_S3_,"axG",@progbits,_Z13reduce_kernelILj65ELN6hipcub20BlockReduceAlgorithmE1EmEvPT1_S3_,comdat
	.protected	_Z13reduce_kernelILj65ELN6hipcub20BlockReduceAlgorithmE1EmEvPT1_S3_ ; -- Begin function _Z13reduce_kernelILj65ELN6hipcub20BlockReduceAlgorithmE1EmEvPT1_S3_
	.globl	_Z13reduce_kernelILj65ELN6hipcub20BlockReduceAlgorithmE1EmEvPT1_S3_
	.p2align	8
	.type	_Z13reduce_kernelILj65ELN6hipcub20BlockReduceAlgorithmE1EmEvPT1_S3_,@function
_Z13reduce_kernelILj65ELN6hipcub20BlockReduceAlgorithmE1EmEvPT1_S3_: ; @_Z13reduce_kernelILj65ELN6hipcub20BlockReduceAlgorithmE1EmEvPT1_S3_
; %bb.0:
	s_load_dwordx4 s[0:3], s[4:5], 0x0
	s_mul_i32 s4, s6, 0x41
	v_add_u32_e32 v1, s4, v0
	v_mov_b32_e32 v2, 0
	v_lshlrev_b64 v[1:2], 3, v[1:2]
	s_waitcnt lgkmcnt(0)
	v_mov_b32_e32 v3, s1
	v_add_co_u32_e32 v1, vcc, s0, v1
	v_addc_co_u32_e32 v2, vcc, v3, v2, vcc
	global_load_dwordx2 v[1:2], v[1:2], off
	s_movk_i32 s4, 0x41
	v_lshlrev_b32_e32 v3, 2, v0
	v_cmp_gt_u32_e32 vcc, 33, v0
	s_waitcnt vmcnt(0)
	ds_write2_b32 v3, v1, v2 offset1:65
	s_waitcnt lgkmcnt(0)
	s_barrier
	s_and_saveexec_b64 s[0:1], vcc
	s_cbranch_execz .LBB17_14
; %bb.1:
	v_add_u32_e32 v3, v3, v3
	ds_read2_b32 v[1:2], v3 offset1:65
	v_lshl_or_b32 v4, v0, 1, 1
	v_cmp_gt_u32_e32 vcc, s4, v4
	s_and_saveexec_b64 s[4:5], vcc
	s_cbranch_execz .LBB17_3
; %bb.2:
	ds_read2_b32 v[3:4], v3 offset0:1 offset1:66
	s_waitcnt lgkmcnt(0)
	v_add_co_u32_e32 v1, vcc, v3, v1
	v_addc_co_u32_e32 v2, vcc, v4, v2, vcc
.LBB17_3:
	s_or_b64 exec, exec, s[4:5]
	v_mbcnt_lo_u32_b32 v3, -1, 0
	v_mbcnt_hi_u32_b32 v3, -1, v3
	v_and_b32_e32 v5, 63, v3
	v_cmp_ne_u32_e32 vcc, 63, v5
	v_addc_co_u32_e32 v4, vcc, 0, v3, vcc
	v_lshlrev_b32_e32 v4, 2, v4
	s_waitcnt lgkmcnt(0)
	ds_bpermute_b32 v7, v4, v1
	ds_bpermute_b32 v6, v4, v2
	v_add_u32_e32 v4, 1, v3
	v_cmp_gt_u32_e32 vcc, 33, v4
	v_mov_b32_e32 v4, v1
	s_and_saveexec_b64 s[4:5], vcc
	s_xor_b64 s[4:5], exec, s[4:5]
	s_cbranch_execz .LBB17_5
; %bb.4:
	s_waitcnt lgkmcnt(1)
	v_add_co_u32_e32 v4, vcc, v1, v7
	v_addc_co_u32_e32 v2, vcc, 0, v2, vcc
	v_add_co_u32_e32 v1, vcc, 0, v4
	s_waitcnt lgkmcnt(0)
	v_addc_co_u32_e32 v2, vcc, v6, v2, vcc
.LBB17_5:
	s_or_b64 exec, exec, s[4:5]
	v_cmp_gt_u32_e32 vcc, 62, v5
	s_waitcnt lgkmcnt(0)
	v_cndmask_b32_e64 v6, 0, 2, vcc
	v_add_lshl_u32 v6, v6, v3, 2
	ds_bpermute_b32 v7, v6, v4
	ds_bpermute_b32 v6, v6, v2
	v_add_u32_e32 v8, 2, v3
	v_cmp_gt_u32_e32 vcc, 33, v8
	s_and_saveexec_b64 s[4:5], vcc
	s_cbranch_execz .LBB17_7
; %bb.6:
	s_waitcnt lgkmcnt(1)
	v_add_co_u32_e32 v4, vcc, v1, v7
	v_addc_co_u32_e32 v2, vcc, 0, v2, vcc
	v_add_co_u32_e32 v1, vcc, 0, v4
	s_waitcnt lgkmcnt(0)
	v_addc_co_u32_e32 v2, vcc, v6, v2, vcc
.LBB17_7:
	s_or_b64 exec, exec, s[4:5]
	v_cmp_gt_u32_e32 vcc, 60, v5
	s_waitcnt lgkmcnt(0)
	v_cndmask_b32_e64 v6, 0, 4, vcc
	v_add_lshl_u32 v6, v6, v3, 2
	ds_bpermute_b32 v7, v6, v4
	ds_bpermute_b32 v6, v6, v2
	v_add_u32_e32 v8, 4, v3
	v_cmp_gt_u32_e32 vcc, 33, v8
	s_and_saveexec_b64 s[4:5], vcc
	;; [unrolled: 19-line block ×3, first 2 shown]
	s_cbranch_execz .LBB17_11
; %bb.10:
	s_waitcnt lgkmcnt(1)
	v_add_co_u32_e32 v4, vcc, v1, v7
	v_addc_co_u32_e32 v2, vcc, 0, v2, vcc
	v_add_co_u32_e32 v1, vcc, 0, v4
	s_waitcnt lgkmcnt(0)
	v_addc_co_u32_e32 v2, vcc, v6, v2, vcc
.LBB17_11:
	s_or_b64 exec, exec, s[4:5]
	v_cmp_gt_u32_e32 vcc, 48, v5
	v_cndmask_b32_e64 v5, 0, 16, vcc
	v_add_lshl_u32 v5, v5, v3, 2
	s_waitcnt lgkmcnt(0)
	ds_bpermute_b32 v6, v5, v4
	ds_bpermute_b32 v5, v5, v2
	v_add_u32_e32 v7, 16, v3
	v_cmp_gt_u32_e32 vcc, 33, v7
	s_and_saveexec_b64 s[4:5], vcc
	s_cbranch_execz .LBB17_13
; %bb.12:
	s_waitcnt lgkmcnt(1)
	v_add_co_u32_e32 v4, vcc, v1, v6
	v_addc_co_u32_e32 v2, vcc, 0, v2, vcc
	v_add_co_u32_e32 v1, vcc, 0, v4
	s_waitcnt lgkmcnt(0)
	v_addc_co_u32_e32 v2, vcc, v5, v2, vcc
.LBB17_13:
	s_or_b64 exec, exec, s[4:5]
	s_waitcnt lgkmcnt(0)
	v_mov_b32_e32 v5, 0x80
	v_lshl_or_b32 v5, v3, 2, v5
	ds_bpermute_b32 v4, v5, v4
	ds_bpermute_b32 v5, v5, v2
	v_add_u32_e32 v3, 32, v3
	s_waitcnt lgkmcnt(1)
	v_add_co_u32_e32 v4, vcc, v1, v4
	v_addc_co_u32_e32 v6, vcc, 0, v2, vcc
	v_add_co_u32_e32 v4, vcc, 0, v4
	s_waitcnt lgkmcnt(0)
	v_addc_co_u32_e32 v5, vcc, v6, v5, vcc
	v_cmp_gt_u32_e32 vcc, 33, v3
	v_cndmask_b32_e32 v2, v2, v5, vcc
	v_cndmask_b32_e32 v1, v1, v4, vcc
.LBB17_14:
	s_or_b64 exec, exec, s[0:1]
	s_mov_b32 s7, 0
	v_cmp_eq_u32_e32 vcc, 0, v0
	s_and_saveexec_b64 s[0:1], vcc
	s_cbranch_execz .LBB17_16
; %bb.15:
	s_lshl_b64 s[0:1], s[6:7], 3
	s_add_u32 s0, s2, s0
	s_addc_u32 s1, s3, s1
	v_mov_b32_e32 v0, 0
	global_store_dwordx2 v0, v[1:2], s[0:1]
.LBB17_16:
	s_endpgm
	.section	.rodata,"a",@progbits
	.p2align	6, 0x0
	.amdhsa_kernel _Z13reduce_kernelILj65ELN6hipcub20BlockReduceAlgorithmE1EmEvPT1_S3_
		.amdhsa_group_segment_fixed_size 520
		.amdhsa_private_segment_fixed_size 0
		.amdhsa_kernarg_size 16
		.amdhsa_user_sgpr_count 6
		.amdhsa_user_sgpr_private_segment_buffer 1
		.amdhsa_user_sgpr_dispatch_ptr 0
		.amdhsa_user_sgpr_queue_ptr 0
		.amdhsa_user_sgpr_kernarg_segment_ptr 1
		.amdhsa_user_sgpr_dispatch_id 0
		.amdhsa_user_sgpr_flat_scratch_init 0
		.amdhsa_user_sgpr_private_segment_size 0
		.amdhsa_uses_dynamic_stack 0
		.amdhsa_system_sgpr_private_segment_wavefront_offset 0
		.amdhsa_system_sgpr_workgroup_id_x 1
		.amdhsa_system_sgpr_workgroup_id_y 0
		.amdhsa_system_sgpr_workgroup_id_z 0
		.amdhsa_system_sgpr_workgroup_info 0
		.amdhsa_system_vgpr_workitem_id 0
		.amdhsa_next_free_vgpr 9
		.amdhsa_next_free_sgpr 8
		.amdhsa_reserve_vcc 1
		.amdhsa_reserve_flat_scratch 0
		.amdhsa_float_round_mode_32 0
		.amdhsa_float_round_mode_16_64 0
		.amdhsa_float_denorm_mode_32 3
		.amdhsa_float_denorm_mode_16_64 3
		.amdhsa_dx10_clamp 1
		.amdhsa_ieee_mode 1
		.amdhsa_fp16_overflow 0
		.amdhsa_exception_fp_ieee_invalid_op 0
		.amdhsa_exception_fp_denorm_src 0
		.amdhsa_exception_fp_ieee_div_zero 0
		.amdhsa_exception_fp_ieee_overflow 0
		.amdhsa_exception_fp_ieee_underflow 0
		.amdhsa_exception_fp_ieee_inexact 0
		.amdhsa_exception_int_div_zero 0
	.end_amdhsa_kernel
	.section	.text._Z13reduce_kernelILj65ELN6hipcub20BlockReduceAlgorithmE1EmEvPT1_S3_,"axG",@progbits,_Z13reduce_kernelILj65ELN6hipcub20BlockReduceAlgorithmE1EmEvPT1_S3_,comdat
.Lfunc_end17:
	.size	_Z13reduce_kernelILj65ELN6hipcub20BlockReduceAlgorithmE1EmEvPT1_S3_, .Lfunc_end17-_Z13reduce_kernelILj65ELN6hipcub20BlockReduceAlgorithmE1EmEvPT1_S3_
                                        ; -- End function
	.set _Z13reduce_kernelILj65ELN6hipcub20BlockReduceAlgorithmE1EmEvPT1_S3_.num_vgpr, 9
	.set _Z13reduce_kernelILj65ELN6hipcub20BlockReduceAlgorithmE1EmEvPT1_S3_.num_agpr, 0
	.set _Z13reduce_kernelILj65ELN6hipcub20BlockReduceAlgorithmE1EmEvPT1_S3_.numbered_sgpr, 8
	.set _Z13reduce_kernelILj65ELN6hipcub20BlockReduceAlgorithmE1EmEvPT1_S3_.num_named_barrier, 0
	.set _Z13reduce_kernelILj65ELN6hipcub20BlockReduceAlgorithmE1EmEvPT1_S3_.private_seg_size, 0
	.set _Z13reduce_kernelILj65ELN6hipcub20BlockReduceAlgorithmE1EmEvPT1_S3_.uses_vcc, 1
	.set _Z13reduce_kernelILj65ELN6hipcub20BlockReduceAlgorithmE1EmEvPT1_S3_.uses_flat_scratch, 0
	.set _Z13reduce_kernelILj65ELN6hipcub20BlockReduceAlgorithmE1EmEvPT1_S3_.has_dyn_sized_stack, 0
	.set _Z13reduce_kernelILj65ELN6hipcub20BlockReduceAlgorithmE1EmEvPT1_S3_.has_recursion, 0
	.set _Z13reduce_kernelILj65ELN6hipcub20BlockReduceAlgorithmE1EmEvPT1_S3_.has_indirect_call, 0
	.section	.AMDGPU.csdata,"",@progbits
; Kernel info:
; codeLenInByte = 716
; TotalNumSgprs: 12
; NumVgprs: 9
; ScratchSize: 0
; MemoryBound: 0
; FloatMode: 240
; IeeeMode: 1
; LDSByteSize: 520 bytes/workgroup (compile time only)
; SGPRBlocks: 1
; VGPRBlocks: 2
; NumSGPRsForWavesPerEU: 12
; NumVGPRsForWavesPerEU: 9
; Occupancy: 10
; WaveLimiterHint : 0
; COMPUTE_PGM_RSRC2:SCRATCH_EN: 0
; COMPUTE_PGM_RSRC2:USER_SGPR: 6
; COMPUTE_PGM_RSRC2:TRAP_HANDLER: 0
; COMPUTE_PGM_RSRC2:TGID_X_EN: 1
; COMPUTE_PGM_RSRC2:TGID_Y_EN: 0
; COMPUTE_PGM_RSRC2:TGID_Z_EN: 0
; COMPUTE_PGM_RSRC2:TIDIG_COMP_CNT: 0
	.section	.text._Z13reduce_kernelILj1024ELN6hipcub20BlockReduceAlgorithmE1EiEvPT1_S3_,"axG",@progbits,_Z13reduce_kernelILj1024ELN6hipcub20BlockReduceAlgorithmE1EiEvPT1_S3_,comdat
	.protected	_Z13reduce_kernelILj1024ELN6hipcub20BlockReduceAlgorithmE1EiEvPT1_S3_ ; -- Begin function _Z13reduce_kernelILj1024ELN6hipcub20BlockReduceAlgorithmE1EiEvPT1_S3_
	.globl	_Z13reduce_kernelILj1024ELN6hipcub20BlockReduceAlgorithmE1EiEvPT1_S3_
	.p2align	8
	.type	_Z13reduce_kernelILj1024ELN6hipcub20BlockReduceAlgorithmE1EiEvPT1_S3_,@function
_Z13reduce_kernelILj1024ELN6hipcub20BlockReduceAlgorithmE1EiEvPT1_S3_: ; @_Z13reduce_kernelILj1024ELN6hipcub20BlockReduceAlgorithmE1EiEvPT1_S3_
; %bb.0:
	s_load_dwordx4 s[0:3], s[4:5], 0x0
	v_lshl_or_b32 v1, s6, 10, v0
	v_mov_b32_e32 v2, 0
	v_lshlrev_b64 v[1:2], 2, v[1:2]
	s_waitcnt lgkmcnt(0)
	v_mov_b32_e32 v3, s1
	v_add_co_u32_e32 v1, vcc, s0, v1
	v_addc_co_u32_e32 v2, vcc, v3, v2, vcc
	global_load_dword v1, v[1:2], off
	v_lshlrev_b32_e32 v2, 2, v0
	v_cmp_gt_u32_e32 vcc, 64, v0
	s_waitcnt vmcnt(0)
	ds_write_b32 v2, v1
	s_waitcnt lgkmcnt(0)
	s_barrier
	s_and_saveexec_b64 s[0:1], vcc
	s_cbranch_execz .LBB18_2
; %bb.1:
	v_mad_u32_u24 v13, v0, 60, v2
	ds_read2_b64 v[1:4], v13 offset1:1
	ds_read2_b64 v[5:8], v13 offset0:2 offset1:3
	ds_read2_b64 v[9:12], v13 offset0:4 offset1:5
	;; [unrolled: 1-line block ×3, first 2 shown]
	v_mbcnt_lo_u32_b32 v17, -1, 0
	s_waitcnt lgkmcnt(3)
	v_add_u32_e32 v1, v2, v1
	v_add3_u32 v1, v1, v3, v4
	s_waitcnt lgkmcnt(2)
	v_add3_u32 v1, v1, v5, v6
	v_add3_u32 v1, v1, v7, v8
	s_waitcnt lgkmcnt(1)
	v_add3_u32 v1, v1, v9, v10
	;; [unrolled: 3-line block ×3, first 2 shown]
	v_add3_u32 v1, v1, v15, v16
	v_bfrev_b32_e32 v3, 0.5
	s_nop 0
	v_mov_b32_dpp v2, v1 quad_perm:[1,0,3,2] row_mask:0xf bank_mask:0xf
	v_add_u32_e32 v1, v2, v1
	s_nop 1
	v_mov_b32_dpp v2, v1 quad_perm:[2,3,0,1] row_mask:0xf bank_mask:0xf
	v_add_u32_e32 v1, v1, v2
	s_nop 1
	v_mov_b32_dpp v2, v1 row_ror:4 row_mask:0xf bank_mask:0xf
	v_add_u32_e32 v1, v1, v2
	s_nop 1
	v_mov_b32_dpp v2, v1 row_ror:8 row_mask:0xf bank_mask:0xf
	v_add_u32_e32 v1, v1, v2
	s_nop 1
	v_mov_b32_dpp v2, v1 row_bcast:15 row_mask:0xf bank_mask:0xf
	v_add_u32_e32 v1, v1, v2
	s_nop 1
	v_mov_b32_dpp v2, v1 row_bcast:31 row_mask:0xf bank_mask:0xf
	v_add_u32_e32 v1, v1, v2
	v_mbcnt_hi_u32_b32 v2, -1, v17
	v_lshl_or_b32 v2, v2, 2, v3
	ds_bpermute_b32 v1, v2, v1
.LBB18_2:
	s_or_b64 exec, exec, s[0:1]
	s_mov_b32 s7, 0
	v_cmp_eq_u32_e32 vcc, 0, v0
	s_and_saveexec_b64 s[0:1], vcc
	s_cbranch_execz .LBB18_4
; %bb.3:
	s_lshl_b64 s[0:1], s[6:7], 2
	s_add_u32 s0, s2, s0
	s_addc_u32 s1, s3, s1
	v_mov_b32_e32 v0, 0
	s_waitcnt lgkmcnt(0)
	global_store_dword v0, v1, s[0:1]
.LBB18_4:
	s_endpgm
	.section	.rodata,"a",@progbits
	.p2align	6, 0x0
	.amdhsa_kernel _Z13reduce_kernelILj1024ELN6hipcub20BlockReduceAlgorithmE1EiEvPT1_S3_
		.amdhsa_group_segment_fixed_size 4096
		.amdhsa_private_segment_fixed_size 0
		.amdhsa_kernarg_size 16
		.amdhsa_user_sgpr_count 6
		.amdhsa_user_sgpr_private_segment_buffer 1
		.amdhsa_user_sgpr_dispatch_ptr 0
		.amdhsa_user_sgpr_queue_ptr 0
		.amdhsa_user_sgpr_kernarg_segment_ptr 1
		.amdhsa_user_sgpr_dispatch_id 0
		.amdhsa_user_sgpr_flat_scratch_init 0
		.amdhsa_user_sgpr_private_segment_size 0
		.amdhsa_uses_dynamic_stack 0
		.amdhsa_system_sgpr_private_segment_wavefront_offset 0
		.amdhsa_system_sgpr_workgroup_id_x 1
		.amdhsa_system_sgpr_workgroup_id_y 0
		.amdhsa_system_sgpr_workgroup_id_z 0
		.amdhsa_system_sgpr_workgroup_info 0
		.amdhsa_system_vgpr_workitem_id 0
		.amdhsa_next_free_vgpr 29
		.amdhsa_next_free_sgpr 61
		.amdhsa_reserve_vcc 1
		.amdhsa_reserve_flat_scratch 0
		.amdhsa_float_round_mode_32 0
		.amdhsa_float_round_mode_16_64 0
		.amdhsa_float_denorm_mode_32 3
		.amdhsa_float_denorm_mode_16_64 3
		.amdhsa_dx10_clamp 1
		.amdhsa_ieee_mode 1
		.amdhsa_fp16_overflow 0
		.amdhsa_exception_fp_ieee_invalid_op 0
		.amdhsa_exception_fp_denorm_src 0
		.amdhsa_exception_fp_ieee_div_zero 0
		.amdhsa_exception_fp_ieee_overflow 0
		.amdhsa_exception_fp_ieee_underflow 0
		.amdhsa_exception_fp_ieee_inexact 0
		.amdhsa_exception_int_div_zero 0
	.end_amdhsa_kernel
	.section	.text._Z13reduce_kernelILj1024ELN6hipcub20BlockReduceAlgorithmE1EiEvPT1_S3_,"axG",@progbits,_Z13reduce_kernelILj1024ELN6hipcub20BlockReduceAlgorithmE1EiEvPT1_S3_,comdat
.Lfunc_end18:
	.size	_Z13reduce_kernelILj1024ELN6hipcub20BlockReduceAlgorithmE1EiEvPT1_S3_, .Lfunc_end18-_Z13reduce_kernelILj1024ELN6hipcub20BlockReduceAlgorithmE1EiEvPT1_S3_
                                        ; -- End function
	.set _Z13reduce_kernelILj1024ELN6hipcub20BlockReduceAlgorithmE1EiEvPT1_S3_.num_vgpr, 18
	.set _Z13reduce_kernelILj1024ELN6hipcub20BlockReduceAlgorithmE1EiEvPT1_S3_.num_agpr, 0
	.set _Z13reduce_kernelILj1024ELN6hipcub20BlockReduceAlgorithmE1EiEvPT1_S3_.numbered_sgpr, 8
	.set _Z13reduce_kernelILj1024ELN6hipcub20BlockReduceAlgorithmE1EiEvPT1_S3_.num_named_barrier, 0
	.set _Z13reduce_kernelILj1024ELN6hipcub20BlockReduceAlgorithmE1EiEvPT1_S3_.private_seg_size, 0
	.set _Z13reduce_kernelILj1024ELN6hipcub20BlockReduceAlgorithmE1EiEvPT1_S3_.uses_vcc, 1
	.set _Z13reduce_kernelILj1024ELN6hipcub20BlockReduceAlgorithmE1EiEvPT1_S3_.uses_flat_scratch, 0
	.set _Z13reduce_kernelILj1024ELN6hipcub20BlockReduceAlgorithmE1EiEvPT1_S3_.has_dyn_sized_stack, 0
	.set _Z13reduce_kernelILj1024ELN6hipcub20BlockReduceAlgorithmE1EiEvPT1_S3_.has_recursion, 0
	.set _Z13reduce_kernelILj1024ELN6hipcub20BlockReduceAlgorithmE1EiEvPT1_S3_.has_indirect_call, 0
	.section	.AMDGPU.csdata,"",@progbits
; Kernel info:
; codeLenInByte = 388
; TotalNumSgprs: 12
; NumVgprs: 18
; ScratchSize: 0
; MemoryBound: 0
; FloatMode: 240
; IeeeMode: 1
; LDSByteSize: 4096 bytes/workgroup (compile time only)
; SGPRBlocks: 8
; VGPRBlocks: 7
; NumSGPRsForWavesPerEU: 65
; NumVGPRsForWavesPerEU: 29
; Occupancy: 8
; WaveLimiterHint : 0
; COMPUTE_PGM_RSRC2:SCRATCH_EN: 0
; COMPUTE_PGM_RSRC2:USER_SGPR: 6
; COMPUTE_PGM_RSRC2:TRAP_HANDLER: 0
; COMPUTE_PGM_RSRC2:TGID_X_EN: 1
; COMPUTE_PGM_RSRC2:TGID_Y_EN: 0
; COMPUTE_PGM_RSRC2:TGID_Z_EN: 0
; COMPUTE_PGM_RSRC2:TIDIG_COMP_CNT: 0
	.section	.text._Z13reduce_kernelILj512ELN6hipcub20BlockReduceAlgorithmE1EiEvPT1_S3_,"axG",@progbits,_Z13reduce_kernelILj512ELN6hipcub20BlockReduceAlgorithmE1EiEvPT1_S3_,comdat
	.protected	_Z13reduce_kernelILj512ELN6hipcub20BlockReduceAlgorithmE1EiEvPT1_S3_ ; -- Begin function _Z13reduce_kernelILj512ELN6hipcub20BlockReduceAlgorithmE1EiEvPT1_S3_
	.globl	_Z13reduce_kernelILj512ELN6hipcub20BlockReduceAlgorithmE1EiEvPT1_S3_
	.p2align	8
	.type	_Z13reduce_kernelILj512ELN6hipcub20BlockReduceAlgorithmE1EiEvPT1_S3_,@function
_Z13reduce_kernelILj512ELN6hipcub20BlockReduceAlgorithmE1EiEvPT1_S3_: ; @_Z13reduce_kernelILj512ELN6hipcub20BlockReduceAlgorithmE1EiEvPT1_S3_
; %bb.0:
	s_load_dwordx4 s[0:3], s[4:5], 0x0
	v_lshl_or_b32 v1, s6, 9, v0
	v_mov_b32_e32 v2, 0
	v_lshlrev_b64 v[1:2], 2, v[1:2]
	s_waitcnt lgkmcnt(0)
	v_mov_b32_e32 v3, s1
	v_add_co_u32_e32 v1, vcc, s0, v1
	v_addc_co_u32_e32 v2, vcc, v3, v2, vcc
	global_load_dword v1, v[1:2], off
	v_lshlrev_b32_e32 v2, 2, v0
	v_cmp_gt_u32_e32 vcc, 64, v0
	s_waitcnt vmcnt(0)
	ds_write_b32 v2, v1
	s_waitcnt lgkmcnt(0)
	s_barrier
	s_and_saveexec_b64 s[0:1], vcc
	s_cbranch_execz .LBB19_2
; %bb.1:
	v_mad_u32_u24 v5, v0, 28, v2
	ds_read2_b64 v[1:4], v5 offset1:1
	ds_read2_b64 v[5:8], v5 offset0:2 offset1:3
	v_mbcnt_lo_u32_b32 v9, -1, 0
	v_bfrev_b32_e32 v10, 0.5
	v_mbcnt_hi_u32_b32 v9, -1, v9
	s_waitcnt lgkmcnt(1)
	v_add_u32_e32 v1, v2, v1
	v_add3_u32 v1, v1, v3, v4
	s_waitcnt lgkmcnt(0)
	v_add3_u32 v1, v1, v5, v6
	v_add3_u32 v1, v1, v7, v8
	s_nop 1
	v_mov_b32_dpp v2, v1 quad_perm:[1,0,3,2] row_mask:0xf bank_mask:0xf
	v_add_u32_e32 v1, v2, v1
	s_nop 1
	v_mov_b32_dpp v2, v1 quad_perm:[2,3,0,1] row_mask:0xf bank_mask:0xf
	v_add_u32_e32 v1, v1, v2
	s_nop 1
	v_mov_b32_dpp v2, v1 row_ror:4 row_mask:0xf bank_mask:0xf
	v_add_u32_e32 v1, v1, v2
	s_nop 1
	v_mov_b32_dpp v2, v1 row_ror:8 row_mask:0xf bank_mask:0xf
	v_add_u32_e32 v1, v1, v2
	s_nop 1
	v_mov_b32_dpp v2, v1 row_bcast:15 row_mask:0xf bank_mask:0xf
	v_add_u32_e32 v1, v1, v2
	s_nop 1
	v_mov_b32_dpp v2, v1 row_bcast:31 row_mask:0xf bank_mask:0xf
	v_add_u32_e32 v1, v1, v2
	v_lshl_or_b32 v2, v9, 2, v10
	ds_bpermute_b32 v1, v2, v1
.LBB19_2:
	s_or_b64 exec, exec, s[0:1]
	s_mov_b32 s7, 0
	v_cmp_eq_u32_e32 vcc, 0, v0
	s_and_saveexec_b64 s[0:1], vcc
	s_cbranch_execz .LBB19_4
; %bb.3:
	s_lshl_b64 s[0:1], s[6:7], 2
	s_add_u32 s0, s2, s0
	s_addc_u32 s1, s3, s1
	v_mov_b32_e32 v0, 0
	s_waitcnt lgkmcnt(0)
	global_store_dword v0, v1, s[0:1]
.LBB19_4:
	s_endpgm
	.section	.rodata,"a",@progbits
	.p2align	6, 0x0
	.amdhsa_kernel _Z13reduce_kernelILj512ELN6hipcub20BlockReduceAlgorithmE1EiEvPT1_S3_
		.amdhsa_group_segment_fixed_size 2048
		.amdhsa_private_segment_fixed_size 0
		.amdhsa_kernarg_size 16
		.amdhsa_user_sgpr_count 6
		.amdhsa_user_sgpr_private_segment_buffer 1
		.amdhsa_user_sgpr_dispatch_ptr 0
		.amdhsa_user_sgpr_queue_ptr 0
		.amdhsa_user_sgpr_kernarg_segment_ptr 1
		.amdhsa_user_sgpr_dispatch_id 0
		.amdhsa_user_sgpr_flat_scratch_init 0
		.amdhsa_user_sgpr_private_segment_size 0
		.amdhsa_uses_dynamic_stack 0
		.amdhsa_system_sgpr_private_segment_wavefront_offset 0
		.amdhsa_system_sgpr_workgroup_id_x 1
		.amdhsa_system_sgpr_workgroup_id_y 0
		.amdhsa_system_sgpr_workgroup_id_z 0
		.amdhsa_system_sgpr_workgroup_info 0
		.amdhsa_system_vgpr_workitem_id 0
		.amdhsa_next_free_vgpr 11
		.amdhsa_next_free_sgpr 8
		.amdhsa_reserve_vcc 1
		.amdhsa_reserve_flat_scratch 0
		.amdhsa_float_round_mode_32 0
		.amdhsa_float_round_mode_16_64 0
		.amdhsa_float_denorm_mode_32 3
		.amdhsa_float_denorm_mode_16_64 3
		.amdhsa_dx10_clamp 1
		.amdhsa_ieee_mode 1
		.amdhsa_fp16_overflow 0
		.amdhsa_exception_fp_ieee_invalid_op 0
		.amdhsa_exception_fp_denorm_src 0
		.amdhsa_exception_fp_ieee_div_zero 0
		.amdhsa_exception_fp_ieee_overflow 0
		.amdhsa_exception_fp_ieee_underflow 0
		.amdhsa_exception_fp_ieee_inexact 0
		.amdhsa_exception_int_div_zero 0
	.end_amdhsa_kernel
	.section	.text._Z13reduce_kernelILj512ELN6hipcub20BlockReduceAlgorithmE1EiEvPT1_S3_,"axG",@progbits,_Z13reduce_kernelILj512ELN6hipcub20BlockReduceAlgorithmE1EiEvPT1_S3_,comdat
.Lfunc_end19:
	.size	_Z13reduce_kernelILj512ELN6hipcub20BlockReduceAlgorithmE1EiEvPT1_S3_, .Lfunc_end19-_Z13reduce_kernelILj512ELN6hipcub20BlockReduceAlgorithmE1EiEvPT1_S3_
                                        ; -- End function
	.set _Z13reduce_kernelILj512ELN6hipcub20BlockReduceAlgorithmE1EiEvPT1_S3_.num_vgpr, 11
	.set _Z13reduce_kernelILj512ELN6hipcub20BlockReduceAlgorithmE1EiEvPT1_S3_.num_agpr, 0
	.set _Z13reduce_kernelILj512ELN6hipcub20BlockReduceAlgorithmE1EiEvPT1_S3_.numbered_sgpr, 8
	.set _Z13reduce_kernelILj512ELN6hipcub20BlockReduceAlgorithmE1EiEvPT1_S3_.num_named_barrier, 0
	.set _Z13reduce_kernelILj512ELN6hipcub20BlockReduceAlgorithmE1EiEvPT1_S3_.private_seg_size, 0
	.set _Z13reduce_kernelILj512ELN6hipcub20BlockReduceAlgorithmE1EiEvPT1_S3_.uses_vcc, 1
	.set _Z13reduce_kernelILj512ELN6hipcub20BlockReduceAlgorithmE1EiEvPT1_S3_.uses_flat_scratch, 0
	.set _Z13reduce_kernelILj512ELN6hipcub20BlockReduceAlgorithmE1EiEvPT1_S3_.has_dyn_sized_stack, 0
	.set _Z13reduce_kernelILj512ELN6hipcub20BlockReduceAlgorithmE1EiEvPT1_S3_.has_recursion, 0
	.set _Z13reduce_kernelILj512ELN6hipcub20BlockReduceAlgorithmE1EiEvPT1_S3_.has_indirect_call, 0
	.section	.AMDGPU.csdata,"",@progbits
; Kernel info:
; codeLenInByte = 332
; TotalNumSgprs: 12
; NumVgprs: 11
; ScratchSize: 0
; MemoryBound: 0
; FloatMode: 240
; IeeeMode: 1
; LDSByteSize: 2048 bytes/workgroup (compile time only)
; SGPRBlocks: 1
; VGPRBlocks: 2
; NumSGPRsForWavesPerEU: 12
; NumVGPRsForWavesPerEU: 11
; Occupancy: 10
; WaveLimiterHint : 0
; COMPUTE_PGM_RSRC2:SCRATCH_EN: 0
; COMPUTE_PGM_RSRC2:USER_SGPR: 6
; COMPUTE_PGM_RSRC2:TRAP_HANDLER: 0
; COMPUTE_PGM_RSRC2:TGID_X_EN: 1
; COMPUTE_PGM_RSRC2:TGID_Y_EN: 0
; COMPUTE_PGM_RSRC2:TGID_Z_EN: 0
; COMPUTE_PGM_RSRC2:TIDIG_COMP_CNT: 0
	.section	.text._Z13reduce_kernelILj256ELN6hipcub20BlockReduceAlgorithmE1EiEvPT1_S3_,"axG",@progbits,_Z13reduce_kernelILj256ELN6hipcub20BlockReduceAlgorithmE1EiEvPT1_S3_,comdat
	.protected	_Z13reduce_kernelILj256ELN6hipcub20BlockReduceAlgorithmE1EiEvPT1_S3_ ; -- Begin function _Z13reduce_kernelILj256ELN6hipcub20BlockReduceAlgorithmE1EiEvPT1_S3_
	.globl	_Z13reduce_kernelILj256ELN6hipcub20BlockReduceAlgorithmE1EiEvPT1_S3_
	.p2align	8
	.type	_Z13reduce_kernelILj256ELN6hipcub20BlockReduceAlgorithmE1EiEvPT1_S3_,@function
_Z13reduce_kernelILj256ELN6hipcub20BlockReduceAlgorithmE1EiEvPT1_S3_: ; @_Z13reduce_kernelILj256ELN6hipcub20BlockReduceAlgorithmE1EiEvPT1_S3_
; %bb.0:
	s_load_dwordx4 s[0:3], s[4:5], 0x0
	v_lshl_or_b32 v1, s6, 8, v0
	v_mov_b32_e32 v2, 0
	v_lshlrev_b64 v[1:2], 2, v[1:2]
	s_waitcnt lgkmcnt(0)
	v_mov_b32_e32 v3, s1
	v_add_co_u32_e32 v1, vcc, s0, v1
	v_addc_co_u32_e32 v2, vcc, v3, v2, vcc
	global_load_dword v1, v[1:2], off
	v_lshlrev_b32_e32 v2, 2, v0
	v_cmp_gt_u32_e32 vcc, 64, v0
	s_waitcnt vmcnt(0)
	ds_write_b32 v2, v1
	s_waitcnt lgkmcnt(0)
	s_barrier
	s_and_saveexec_b64 s[0:1], vcc
	s_cbranch_execz .LBB20_2
; %bb.1:
	v_mad_u32_u24 v1, v0, 12, v2
	ds_read2_b64 v[1:4], v1 offset1:1
	v_mbcnt_lo_u32_b32 v5, -1, 0
	v_bfrev_b32_e32 v6, 0.5
	v_mbcnt_hi_u32_b32 v5, -1, v5
	s_waitcnt lgkmcnt(0)
	v_add_u32_e32 v1, v2, v1
	v_add3_u32 v1, v1, v3, v4
	s_nop 1
	v_mov_b32_dpp v2, v1 quad_perm:[1,0,3,2] row_mask:0xf bank_mask:0xf
	v_add_u32_e32 v1, v2, v1
	s_nop 1
	v_mov_b32_dpp v2, v1 quad_perm:[2,3,0,1] row_mask:0xf bank_mask:0xf
	v_add_u32_e32 v1, v1, v2
	s_nop 1
	v_mov_b32_dpp v2, v1 row_ror:4 row_mask:0xf bank_mask:0xf
	v_add_u32_e32 v1, v1, v2
	s_nop 1
	v_mov_b32_dpp v2, v1 row_ror:8 row_mask:0xf bank_mask:0xf
	v_add_u32_e32 v1, v1, v2
	s_nop 1
	v_mov_b32_dpp v2, v1 row_bcast:15 row_mask:0xf bank_mask:0xf
	v_add_u32_e32 v1, v1, v2
	s_nop 1
	v_mov_b32_dpp v2, v1 row_bcast:31 row_mask:0xf bank_mask:0xf
	v_add_u32_e32 v1, v1, v2
	v_lshl_or_b32 v2, v5, 2, v6
	ds_bpermute_b32 v1, v2, v1
.LBB20_2:
	s_or_b64 exec, exec, s[0:1]
	s_mov_b32 s7, 0
	v_cmp_eq_u32_e32 vcc, 0, v0
	s_and_saveexec_b64 s[0:1], vcc
	s_cbranch_execz .LBB20_4
; %bb.3:
	s_lshl_b64 s[0:1], s[6:7], 2
	s_add_u32 s0, s2, s0
	s_addc_u32 s1, s3, s1
	v_mov_b32_e32 v0, 0
	s_waitcnt lgkmcnt(0)
	global_store_dword v0, v1, s[0:1]
.LBB20_4:
	s_endpgm
	.section	.rodata,"a",@progbits
	.p2align	6, 0x0
	.amdhsa_kernel _Z13reduce_kernelILj256ELN6hipcub20BlockReduceAlgorithmE1EiEvPT1_S3_
		.amdhsa_group_segment_fixed_size 1024
		.amdhsa_private_segment_fixed_size 0
		.amdhsa_kernarg_size 16
		.amdhsa_user_sgpr_count 6
		.amdhsa_user_sgpr_private_segment_buffer 1
		.amdhsa_user_sgpr_dispatch_ptr 0
		.amdhsa_user_sgpr_queue_ptr 0
		.amdhsa_user_sgpr_kernarg_segment_ptr 1
		.amdhsa_user_sgpr_dispatch_id 0
		.amdhsa_user_sgpr_flat_scratch_init 0
		.amdhsa_user_sgpr_private_segment_size 0
		.amdhsa_uses_dynamic_stack 0
		.amdhsa_system_sgpr_private_segment_wavefront_offset 0
		.amdhsa_system_sgpr_workgroup_id_x 1
		.amdhsa_system_sgpr_workgroup_id_y 0
		.amdhsa_system_sgpr_workgroup_id_z 0
		.amdhsa_system_sgpr_workgroup_info 0
		.amdhsa_system_vgpr_workitem_id 0
		.amdhsa_next_free_vgpr 7
		.amdhsa_next_free_sgpr 8
		.amdhsa_reserve_vcc 1
		.amdhsa_reserve_flat_scratch 0
		.amdhsa_float_round_mode_32 0
		.amdhsa_float_round_mode_16_64 0
		.amdhsa_float_denorm_mode_32 3
		.amdhsa_float_denorm_mode_16_64 3
		.amdhsa_dx10_clamp 1
		.amdhsa_ieee_mode 1
		.amdhsa_fp16_overflow 0
		.amdhsa_exception_fp_ieee_invalid_op 0
		.amdhsa_exception_fp_denorm_src 0
		.amdhsa_exception_fp_ieee_div_zero 0
		.amdhsa_exception_fp_ieee_overflow 0
		.amdhsa_exception_fp_ieee_underflow 0
		.amdhsa_exception_fp_ieee_inexact 0
		.amdhsa_exception_int_div_zero 0
	.end_amdhsa_kernel
	.section	.text._Z13reduce_kernelILj256ELN6hipcub20BlockReduceAlgorithmE1EiEvPT1_S3_,"axG",@progbits,_Z13reduce_kernelILj256ELN6hipcub20BlockReduceAlgorithmE1EiEvPT1_S3_,comdat
.Lfunc_end20:
	.size	_Z13reduce_kernelILj256ELN6hipcub20BlockReduceAlgorithmE1EiEvPT1_S3_, .Lfunc_end20-_Z13reduce_kernelILj256ELN6hipcub20BlockReduceAlgorithmE1EiEvPT1_S3_
                                        ; -- End function
	.set _Z13reduce_kernelILj256ELN6hipcub20BlockReduceAlgorithmE1EiEvPT1_S3_.num_vgpr, 7
	.set _Z13reduce_kernelILj256ELN6hipcub20BlockReduceAlgorithmE1EiEvPT1_S3_.num_agpr, 0
	.set _Z13reduce_kernelILj256ELN6hipcub20BlockReduceAlgorithmE1EiEvPT1_S3_.numbered_sgpr, 8
	.set _Z13reduce_kernelILj256ELN6hipcub20BlockReduceAlgorithmE1EiEvPT1_S3_.num_named_barrier, 0
	.set _Z13reduce_kernelILj256ELN6hipcub20BlockReduceAlgorithmE1EiEvPT1_S3_.private_seg_size, 0
	.set _Z13reduce_kernelILj256ELN6hipcub20BlockReduceAlgorithmE1EiEvPT1_S3_.uses_vcc, 1
	.set _Z13reduce_kernelILj256ELN6hipcub20BlockReduceAlgorithmE1EiEvPT1_S3_.uses_flat_scratch, 0
	.set _Z13reduce_kernelILj256ELN6hipcub20BlockReduceAlgorithmE1EiEvPT1_S3_.has_dyn_sized_stack, 0
	.set _Z13reduce_kernelILj256ELN6hipcub20BlockReduceAlgorithmE1EiEvPT1_S3_.has_recursion, 0
	.set _Z13reduce_kernelILj256ELN6hipcub20BlockReduceAlgorithmE1EiEvPT1_S3_.has_indirect_call, 0
	.section	.AMDGPU.csdata,"",@progbits
; Kernel info:
; codeLenInByte = 304
; TotalNumSgprs: 12
; NumVgprs: 7
; ScratchSize: 0
; MemoryBound: 0
; FloatMode: 240
; IeeeMode: 1
; LDSByteSize: 1024 bytes/workgroup (compile time only)
; SGPRBlocks: 1
; VGPRBlocks: 1
; NumSGPRsForWavesPerEU: 12
; NumVGPRsForWavesPerEU: 7
; Occupancy: 10
; WaveLimiterHint : 0
; COMPUTE_PGM_RSRC2:SCRATCH_EN: 0
; COMPUTE_PGM_RSRC2:USER_SGPR: 6
; COMPUTE_PGM_RSRC2:TRAP_HANDLER: 0
; COMPUTE_PGM_RSRC2:TGID_X_EN: 1
; COMPUTE_PGM_RSRC2:TGID_Y_EN: 0
; COMPUTE_PGM_RSRC2:TGID_Z_EN: 0
; COMPUTE_PGM_RSRC2:TIDIG_COMP_CNT: 0
	.section	.text._Z13reduce_kernelILj192ELN6hipcub20BlockReduceAlgorithmE1EiEvPT1_S3_,"axG",@progbits,_Z13reduce_kernelILj192ELN6hipcub20BlockReduceAlgorithmE1EiEvPT1_S3_,comdat
	.protected	_Z13reduce_kernelILj192ELN6hipcub20BlockReduceAlgorithmE1EiEvPT1_S3_ ; -- Begin function _Z13reduce_kernelILj192ELN6hipcub20BlockReduceAlgorithmE1EiEvPT1_S3_
	.globl	_Z13reduce_kernelILj192ELN6hipcub20BlockReduceAlgorithmE1EiEvPT1_S3_
	.p2align	8
	.type	_Z13reduce_kernelILj192ELN6hipcub20BlockReduceAlgorithmE1EiEvPT1_S3_,@function
_Z13reduce_kernelILj192ELN6hipcub20BlockReduceAlgorithmE1EiEvPT1_S3_: ; @_Z13reduce_kernelILj192ELN6hipcub20BlockReduceAlgorithmE1EiEvPT1_S3_
; %bb.0:
	s_load_dwordx4 s[0:3], s[4:5], 0x0
	s_mul_i32 s4, s6, 0xc0
	v_add_u32_e32 v1, s4, v0
	v_mov_b32_e32 v2, 0
	v_lshlrev_b64 v[1:2], 2, v[1:2]
	s_waitcnt lgkmcnt(0)
	v_mov_b32_e32 v3, s1
	v_add_co_u32_e32 v1, vcc, s0, v1
	v_addc_co_u32_e32 v2, vcc, v3, v2, vcc
	global_load_dword v1, v[1:2], off
	v_lshlrev_b32_e32 v2, 2, v0
	v_cmp_gt_u32_e32 vcc, 64, v0
	s_waitcnt vmcnt(0)
	ds_write_b32 v2, v1
	s_waitcnt lgkmcnt(0)
	s_barrier
	s_and_saveexec_b64 s[0:1], vcc
	s_cbranch_execz .LBB21_2
; %bb.1:
	v_lshl_add_u32 v3, v0, 3, v2
	ds_read2_b32 v[1:2], v3 offset1:1
	ds_read_b32 v3, v3 offset:8
	v_mbcnt_lo_u32_b32 v4, -1, 0
	v_bfrev_b32_e32 v5, 0.5
	v_mbcnt_hi_u32_b32 v4, -1, v4
	s_waitcnt lgkmcnt(0)
	v_add3_u32 v1, v2, v1, v3
	s_nop 1
	v_mov_b32_dpp v2, v1 quad_perm:[1,0,3,2] row_mask:0xf bank_mask:0xf
	v_add_u32_e32 v1, v2, v1
	s_nop 1
	v_mov_b32_dpp v2, v1 quad_perm:[2,3,0,1] row_mask:0xf bank_mask:0xf
	v_add_u32_e32 v1, v1, v2
	s_nop 1
	v_mov_b32_dpp v2, v1 row_ror:4 row_mask:0xf bank_mask:0xf
	v_add_u32_e32 v1, v1, v2
	s_nop 1
	v_mov_b32_dpp v2, v1 row_ror:8 row_mask:0xf bank_mask:0xf
	v_add_u32_e32 v1, v1, v2
	s_nop 1
	v_mov_b32_dpp v2, v1 row_bcast:15 row_mask:0xf bank_mask:0xf
	v_add_u32_e32 v1, v1, v2
	s_nop 1
	v_mov_b32_dpp v2, v1 row_bcast:31 row_mask:0xf bank_mask:0xf
	v_add_u32_e32 v1, v1, v2
	v_lshl_or_b32 v2, v4, 2, v5
	ds_bpermute_b32 v1, v2, v1
.LBB21_2:
	s_or_b64 exec, exec, s[0:1]
	s_mov_b32 s7, 0
	v_cmp_eq_u32_e32 vcc, 0, v0
	s_and_saveexec_b64 s[0:1], vcc
	s_cbranch_execz .LBB21_4
; %bb.3:
	s_lshl_b64 s[0:1], s[6:7], 2
	s_add_u32 s0, s2, s0
	s_addc_u32 s1, s3, s1
	v_mov_b32_e32 v0, 0
	s_waitcnt lgkmcnt(0)
	global_store_dword v0, v1, s[0:1]
.LBB21_4:
	s_endpgm
	.section	.rodata,"a",@progbits
	.p2align	6, 0x0
	.amdhsa_kernel _Z13reduce_kernelILj192ELN6hipcub20BlockReduceAlgorithmE1EiEvPT1_S3_
		.amdhsa_group_segment_fixed_size 768
		.amdhsa_private_segment_fixed_size 0
		.amdhsa_kernarg_size 16
		.amdhsa_user_sgpr_count 6
		.amdhsa_user_sgpr_private_segment_buffer 1
		.amdhsa_user_sgpr_dispatch_ptr 0
		.amdhsa_user_sgpr_queue_ptr 0
		.amdhsa_user_sgpr_kernarg_segment_ptr 1
		.amdhsa_user_sgpr_dispatch_id 0
		.amdhsa_user_sgpr_flat_scratch_init 0
		.amdhsa_user_sgpr_private_segment_size 0
		.amdhsa_uses_dynamic_stack 0
		.amdhsa_system_sgpr_private_segment_wavefront_offset 0
		.amdhsa_system_sgpr_workgroup_id_x 1
		.amdhsa_system_sgpr_workgroup_id_y 0
		.amdhsa_system_sgpr_workgroup_id_z 0
		.amdhsa_system_sgpr_workgroup_info 0
		.amdhsa_system_vgpr_workitem_id 0
		.amdhsa_next_free_vgpr 6
		.amdhsa_next_free_sgpr 8
		.amdhsa_reserve_vcc 1
		.amdhsa_reserve_flat_scratch 0
		.amdhsa_float_round_mode_32 0
		.amdhsa_float_round_mode_16_64 0
		.amdhsa_float_denorm_mode_32 3
		.amdhsa_float_denorm_mode_16_64 3
		.amdhsa_dx10_clamp 1
		.amdhsa_ieee_mode 1
		.amdhsa_fp16_overflow 0
		.amdhsa_exception_fp_ieee_invalid_op 0
		.amdhsa_exception_fp_denorm_src 0
		.amdhsa_exception_fp_ieee_div_zero 0
		.amdhsa_exception_fp_ieee_overflow 0
		.amdhsa_exception_fp_ieee_underflow 0
		.amdhsa_exception_fp_ieee_inexact 0
		.amdhsa_exception_int_div_zero 0
	.end_amdhsa_kernel
	.section	.text._Z13reduce_kernelILj192ELN6hipcub20BlockReduceAlgorithmE1EiEvPT1_S3_,"axG",@progbits,_Z13reduce_kernelILj192ELN6hipcub20BlockReduceAlgorithmE1EiEvPT1_S3_,comdat
.Lfunc_end21:
	.size	_Z13reduce_kernelILj192ELN6hipcub20BlockReduceAlgorithmE1EiEvPT1_S3_, .Lfunc_end21-_Z13reduce_kernelILj192ELN6hipcub20BlockReduceAlgorithmE1EiEvPT1_S3_
                                        ; -- End function
	.set _Z13reduce_kernelILj192ELN6hipcub20BlockReduceAlgorithmE1EiEvPT1_S3_.num_vgpr, 6
	.set _Z13reduce_kernelILj192ELN6hipcub20BlockReduceAlgorithmE1EiEvPT1_S3_.num_agpr, 0
	.set _Z13reduce_kernelILj192ELN6hipcub20BlockReduceAlgorithmE1EiEvPT1_S3_.numbered_sgpr, 8
	.set _Z13reduce_kernelILj192ELN6hipcub20BlockReduceAlgorithmE1EiEvPT1_S3_.num_named_barrier, 0
	.set _Z13reduce_kernelILj192ELN6hipcub20BlockReduceAlgorithmE1EiEvPT1_S3_.private_seg_size, 0
	.set _Z13reduce_kernelILj192ELN6hipcub20BlockReduceAlgorithmE1EiEvPT1_S3_.uses_vcc, 1
	.set _Z13reduce_kernelILj192ELN6hipcub20BlockReduceAlgorithmE1EiEvPT1_S3_.uses_flat_scratch, 0
	.set _Z13reduce_kernelILj192ELN6hipcub20BlockReduceAlgorithmE1EiEvPT1_S3_.has_dyn_sized_stack, 0
	.set _Z13reduce_kernelILj192ELN6hipcub20BlockReduceAlgorithmE1EiEvPT1_S3_.has_recursion, 0
	.set _Z13reduce_kernelILj192ELN6hipcub20BlockReduceAlgorithmE1EiEvPT1_S3_.has_indirect_call, 0
	.section	.AMDGPU.csdata,"",@progbits
; Kernel info:
; codeLenInByte = 312
; TotalNumSgprs: 12
; NumVgprs: 6
; ScratchSize: 0
; MemoryBound: 0
; FloatMode: 240
; IeeeMode: 1
; LDSByteSize: 768 bytes/workgroup (compile time only)
; SGPRBlocks: 1
; VGPRBlocks: 1
; NumSGPRsForWavesPerEU: 12
; NumVGPRsForWavesPerEU: 6
; Occupancy: 10
; WaveLimiterHint : 0
; COMPUTE_PGM_RSRC2:SCRATCH_EN: 0
; COMPUTE_PGM_RSRC2:USER_SGPR: 6
; COMPUTE_PGM_RSRC2:TRAP_HANDLER: 0
; COMPUTE_PGM_RSRC2:TGID_X_EN: 1
; COMPUTE_PGM_RSRC2:TGID_Y_EN: 0
; COMPUTE_PGM_RSRC2:TGID_Z_EN: 0
; COMPUTE_PGM_RSRC2:TIDIG_COMP_CNT: 0
	.section	.text._Z13reduce_kernelILj128ELN6hipcub20BlockReduceAlgorithmE1EiEvPT1_S3_,"axG",@progbits,_Z13reduce_kernelILj128ELN6hipcub20BlockReduceAlgorithmE1EiEvPT1_S3_,comdat
	.protected	_Z13reduce_kernelILj128ELN6hipcub20BlockReduceAlgorithmE1EiEvPT1_S3_ ; -- Begin function _Z13reduce_kernelILj128ELN6hipcub20BlockReduceAlgorithmE1EiEvPT1_S3_
	.globl	_Z13reduce_kernelILj128ELN6hipcub20BlockReduceAlgorithmE1EiEvPT1_S3_
	.p2align	8
	.type	_Z13reduce_kernelILj128ELN6hipcub20BlockReduceAlgorithmE1EiEvPT1_S3_,@function
_Z13reduce_kernelILj128ELN6hipcub20BlockReduceAlgorithmE1EiEvPT1_S3_: ; @_Z13reduce_kernelILj128ELN6hipcub20BlockReduceAlgorithmE1EiEvPT1_S3_
; %bb.0:
	s_load_dwordx4 s[0:3], s[4:5], 0x0
	v_lshl_or_b32 v1, s6, 7, v0
	v_mov_b32_e32 v2, 0
	v_lshlrev_b64 v[1:2], 2, v[1:2]
	s_waitcnt lgkmcnt(0)
	v_mov_b32_e32 v3, s1
	v_add_co_u32_e32 v1, vcc, s0, v1
	v_addc_co_u32_e32 v2, vcc, v3, v2, vcc
	global_load_dword v1, v[1:2], off
	v_lshlrev_b32_e32 v2, 2, v0
	v_cmp_gt_u32_e32 vcc, 64, v0
	s_waitcnt vmcnt(0)
	ds_write_b32 v2, v1
	s_waitcnt lgkmcnt(0)
	s_barrier
	s_and_saveexec_b64 s[0:1], vcc
	s_cbranch_execz .LBB22_2
; %bb.1:
	v_lshl_add_u32 v1, v0, 2, v2
	ds_read_b64 v[1:2], v1
	v_mbcnt_lo_u32_b32 v3, -1, 0
	v_bfrev_b32_e32 v4, 0.5
	v_mbcnt_hi_u32_b32 v3, -1, v3
	s_waitcnt lgkmcnt(0)
	v_add_u32_e32 v1, v2, v1
	s_nop 1
	v_mov_b32_dpp v2, v1 quad_perm:[1,0,3,2] row_mask:0xf bank_mask:0xf
	v_add_u32_e32 v1, v2, v1
	s_nop 1
	v_mov_b32_dpp v2, v1 quad_perm:[2,3,0,1] row_mask:0xf bank_mask:0xf
	v_add_u32_e32 v1, v1, v2
	s_nop 1
	v_mov_b32_dpp v2, v1 row_ror:4 row_mask:0xf bank_mask:0xf
	v_add_u32_e32 v1, v1, v2
	s_nop 1
	v_mov_b32_dpp v2, v1 row_ror:8 row_mask:0xf bank_mask:0xf
	v_add_u32_e32 v1, v1, v2
	s_nop 1
	v_mov_b32_dpp v2, v1 row_bcast:15 row_mask:0xf bank_mask:0xf
	v_add_u32_e32 v1, v1, v2
	s_nop 1
	v_mov_b32_dpp v2, v1 row_bcast:31 row_mask:0xf bank_mask:0xf
	v_add_u32_e32 v1, v1, v2
	v_lshl_or_b32 v2, v3, 2, v4
	ds_bpermute_b32 v1, v2, v1
.LBB22_2:
	s_or_b64 exec, exec, s[0:1]
	s_mov_b32 s7, 0
	v_cmp_eq_u32_e32 vcc, 0, v0
	s_and_saveexec_b64 s[0:1], vcc
	s_cbranch_execz .LBB22_4
; %bb.3:
	s_lshl_b64 s[0:1], s[6:7], 2
	s_add_u32 s0, s2, s0
	s_addc_u32 s1, s3, s1
	v_mov_b32_e32 v0, 0
	s_waitcnt lgkmcnt(0)
	global_store_dword v0, v1, s[0:1]
.LBB22_4:
	s_endpgm
	.section	.rodata,"a",@progbits
	.p2align	6, 0x0
	.amdhsa_kernel _Z13reduce_kernelILj128ELN6hipcub20BlockReduceAlgorithmE1EiEvPT1_S3_
		.amdhsa_group_segment_fixed_size 512
		.amdhsa_private_segment_fixed_size 0
		.amdhsa_kernarg_size 16
		.amdhsa_user_sgpr_count 6
		.amdhsa_user_sgpr_private_segment_buffer 1
		.amdhsa_user_sgpr_dispatch_ptr 0
		.amdhsa_user_sgpr_queue_ptr 0
		.amdhsa_user_sgpr_kernarg_segment_ptr 1
		.amdhsa_user_sgpr_dispatch_id 0
		.amdhsa_user_sgpr_flat_scratch_init 0
		.amdhsa_user_sgpr_private_segment_size 0
		.amdhsa_uses_dynamic_stack 0
		.amdhsa_system_sgpr_private_segment_wavefront_offset 0
		.amdhsa_system_sgpr_workgroup_id_x 1
		.amdhsa_system_sgpr_workgroup_id_y 0
		.amdhsa_system_sgpr_workgroup_id_z 0
		.amdhsa_system_sgpr_workgroup_info 0
		.amdhsa_system_vgpr_workitem_id 0
		.amdhsa_next_free_vgpr 5
		.amdhsa_next_free_sgpr 8
		.amdhsa_reserve_vcc 1
		.amdhsa_reserve_flat_scratch 0
		.amdhsa_float_round_mode_32 0
		.amdhsa_float_round_mode_16_64 0
		.amdhsa_float_denorm_mode_32 3
		.amdhsa_float_denorm_mode_16_64 3
		.amdhsa_dx10_clamp 1
		.amdhsa_ieee_mode 1
		.amdhsa_fp16_overflow 0
		.amdhsa_exception_fp_ieee_invalid_op 0
		.amdhsa_exception_fp_denorm_src 0
		.amdhsa_exception_fp_ieee_div_zero 0
		.amdhsa_exception_fp_ieee_overflow 0
		.amdhsa_exception_fp_ieee_underflow 0
		.amdhsa_exception_fp_ieee_inexact 0
		.amdhsa_exception_int_div_zero 0
	.end_amdhsa_kernel
	.section	.text._Z13reduce_kernelILj128ELN6hipcub20BlockReduceAlgorithmE1EiEvPT1_S3_,"axG",@progbits,_Z13reduce_kernelILj128ELN6hipcub20BlockReduceAlgorithmE1EiEvPT1_S3_,comdat
.Lfunc_end22:
	.size	_Z13reduce_kernelILj128ELN6hipcub20BlockReduceAlgorithmE1EiEvPT1_S3_, .Lfunc_end22-_Z13reduce_kernelILj128ELN6hipcub20BlockReduceAlgorithmE1EiEvPT1_S3_
                                        ; -- End function
	.set _Z13reduce_kernelILj128ELN6hipcub20BlockReduceAlgorithmE1EiEvPT1_S3_.num_vgpr, 5
	.set _Z13reduce_kernelILj128ELN6hipcub20BlockReduceAlgorithmE1EiEvPT1_S3_.num_agpr, 0
	.set _Z13reduce_kernelILj128ELN6hipcub20BlockReduceAlgorithmE1EiEvPT1_S3_.numbered_sgpr, 8
	.set _Z13reduce_kernelILj128ELN6hipcub20BlockReduceAlgorithmE1EiEvPT1_S3_.num_named_barrier, 0
	.set _Z13reduce_kernelILj128ELN6hipcub20BlockReduceAlgorithmE1EiEvPT1_S3_.private_seg_size, 0
	.set _Z13reduce_kernelILj128ELN6hipcub20BlockReduceAlgorithmE1EiEvPT1_S3_.uses_vcc, 1
	.set _Z13reduce_kernelILj128ELN6hipcub20BlockReduceAlgorithmE1EiEvPT1_S3_.uses_flat_scratch, 0
	.set _Z13reduce_kernelILj128ELN6hipcub20BlockReduceAlgorithmE1EiEvPT1_S3_.has_dyn_sized_stack, 0
	.set _Z13reduce_kernelILj128ELN6hipcub20BlockReduceAlgorithmE1EiEvPT1_S3_.has_recursion, 0
	.set _Z13reduce_kernelILj128ELN6hipcub20BlockReduceAlgorithmE1EiEvPT1_S3_.has_indirect_call, 0
	.section	.AMDGPU.csdata,"",@progbits
; Kernel info:
; codeLenInByte = 296
; TotalNumSgprs: 12
; NumVgprs: 5
; ScratchSize: 0
; MemoryBound: 0
; FloatMode: 240
; IeeeMode: 1
; LDSByteSize: 512 bytes/workgroup (compile time only)
; SGPRBlocks: 1
; VGPRBlocks: 1
; NumSGPRsForWavesPerEU: 12
; NumVGPRsForWavesPerEU: 5
; Occupancy: 10
; WaveLimiterHint : 0
; COMPUTE_PGM_RSRC2:SCRATCH_EN: 0
; COMPUTE_PGM_RSRC2:USER_SGPR: 6
; COMPUTE_PGM_RSRC2:TRAP_HANDLER: 0
; COMPUTE_PGM_RSRC2:TGID_X_EN: 1
; COMPUTE_PGM_RSRC2:TGID_Y_EN: 0
; COMPUTE_PGM_RSRC2:TGID_Z_EN: 0
; COMPUTE_PGM_RSRC2:TIDIG_COMP_CNT: 0
	.section	.text._Z13reduce_kernelILj64ELN6hipcub20BlockReduceAlgorithmE1EiEvPT1_S3_,"axG",@progbits,_Z13reduce_kernelILj64ELN6hipcub20BlockReduceAlgorithmE1EiEvPT1_S3_,comdat
	.protected	_Z13reduce_kernelILj64ELN6hipcub20BlockReduceAlgorithmE1EiEvPT1_S3_ ; -- Begin function _Z13reduce_kernelILj64ELN6hipcub20BlockReduceAlgorithmE1EiEvPT1_S3_
	.globl	_Z13reduce_kernelILj64ELN6hipcub20BlockReduceAlgorithmE1EiEvPT1_S3_
	.p2align	8
	.type	_Z13reduce_kernelILj64ELN6hipcub20BlockReduceAlgorithmE1EiEvPT1_S3_,@function
_Z13reduce_kernelILj64ELN6hipcub20BlockReduceAlgorithmE1EiEvPT1_S3_: ; @_Z13reduce_kernelILj64ELN6hipcub20BlockReduceAlgorithmE1EiEvPT1_S3_
; %bb.0:
	s_load_dwordx4 s[0:3], s[4:5], 0x0
	v_lshl_or_b32 v1, s6, 6, v0
	v_mov_b32_e32 v2, 0
	v_lshlrev_b64 v[1:2], 2, v[1:2]
	s_waitcnt lgkmcnt(0)
	v_mov_b32_e32 v3, s1
	v_add_co_u32_e32 v1, vcc, s0, v1
	v_addc_co_u32_e32 v2, vcc, v3, v2, vcc
	global_load_dword v1, v[1:2], off
	v_lshlrev_b32_e32 v2, 2, v0
	v_cmp_gt_u32_e32 vcc, 64, v0
	s_waitcnt vmcnt(0)
	ds_write_b32 v2, v1
	s_waitcnt lgkmcnt(0)
	; wave barrier
	s_and_saveexec_b64 s[0:1], vcc
	s_cbranch_execz .LBB23_2
; %bb.1:
	ds_read_b32 v1, v2
	v_mbcnt_lo_u32_b32 v2, -1, 0
	v_bfrev_b32_e32 v3, 0.5
	v_mbcnt_hi_u32_b32 v2, -1, v2
	v_lshl_or_b32 v2, v2, 2, v3
	s_waitcnt lgkmcnt(0)
	v_mov_b32_dpp v4, v1 quad_perm:[1,0,3,2] row_mask:0xf bank_mask:0xf
	v_add_u32_e32 v1, v4, v1
	s_nop 1
	v_mov_b32_dpp v4, v1 quad_perm:[2,3,0,1] row_mask:0xf bank_mask:0xf
	v_add_u32_e32 v1, v1, v4
	s_nop 1
	v_mov_b32_dpp v4, v1 row_ror:4 row_mask:0xf bank_mask:0xf
	v_add_u32_e32 v1, v1, v4
	s_nop 1
	v_mov_b32_dpp v4, v1 row_ror:8 row_mask:0xf bank_mask:0xf
	v_add_u32_e32 v1, v1, v4
	s_nop 1
	v_mov_b32_dpp v4, v1 row_bcast:15 row_mask:0xf bank_mask:0xf
	v_add_u32_e32 v1, v1, v4
	s_nop 1
	v_mov_b32_dpp v4, v1 row_bcast:31 row_mask:0xf bank_mask:0xf
	v_add_u32_e32 v1, v1, v4
	ds_bpermute_b32 v1, v2, v1
.LBB23_2:
	s_or_b64 exec, exec, s[0:1]
	s_mov_b32 s7, 0
	v_cmp_eq_u32_e32 vcc, 0, v0
	s_and_saveexec_b64 s[0:1], vcc
	s_cbranch_execz .LBB23_4
; %bb.3:
	s_lshl_b64 s[0:1], s[6:7], 2
	s_add_u32 s0, s2, s0
	s_addc_u32 s1, s3, s1
	v_mov_b32_e32 v0, 0
	s_waitcnt lgkmcnt(0)
	global_store_dword v0, v1, s[0:1]
.LBB23_4:
	s_endpgm
	.section	.rodata,"a",@progbits
	.p2align	6, 0x0
	.amdhsa_kernel _Z13reduce_kernelILj64ELN6hipcub20BlockReduceAlgorithmE1EiEvPT1_S3_
		.amdhsa_group_segment_fixed_size 256
		.amdhsa_private_segment_fixed_size 0
		.amdhsa_kernarg_size 16
		.amdhsa_user_sgpr_count 6
		.amdhsa_user_sgpr_private_segment_buffer 1
		.amdhsa_user_sgpr_dispatch_ptr 0
		.amdhsa_user_sgpr_queue_ptr 0
		.amdhsa_user_sgpr_kernarg_segment_ptr 1
		.amdhsa_user_sgpr_dispatch_id 0
		.amdhsa_user_sgpr_flat_scratch_init 0
		.amdhsa_user_sgpr_private_segment_size 0
		.amdhsa_uses_dynamic_stack 0
		.amdhsa_system_sgpr_private_segment_wavefront_offset 0
		.amdhsa_system_sgpr_workgroup_id_x 1
		.amdhsa_system_sgpr_workgroup_id_y 0
		.amdhsa_system_sgpr_workgroup_id_z 0
		.amdhsa_system_sgpr_workgroup_info 0
		.amdhsa_system_vgpr_workitem_id 0
		.amdhsa_next_free_vgpr 5
		.amdhsa_next_free_sgpr 8
		.amdhsa_reserve_vcc 1
		.amdhsa_reserve_flat_scratch 0
		.amdhsa_float_round_mode_32 0
		.amdhsa_float_round_mode_16_64 0
		.amdhsa_float_denorm_mode_32 3
		.amdhsa_float_denorm_mode_16_64 3
		.amdhsa_dx10_clamp 1
		.amdhsa_ieee_mode 1
		.amdhsa_fp16_overflow 0
		.amdhsa_exception_fp_ieee_invalid_op 0
		.amdhsa_exception_fp_denorm_src 0
		.amdhsa_exception_fp_ieee_div_zero 0
		.amdhsa_exception_fp_ieee_overflow 0
		.amdhsa_exception_fp_ieee_underflow 0
		.amdhsa_exception_fp_ieee_inexact 0
		.amdhsa_exception_int_div_zero 0
	.end_amdhsa_kernel
	.section	.text._Z13reduce_kernelILj64ELN6hipcub20BlockReduceAlgorithmE1EiEvPT1_S3_,"axG",@progbits,_Z13reduce_kernelILj64ELN6hipcub20BlockReduceAlgorithmE1EiEvPT1_S3_,comdat
.Lfunc_end23:
	.size	_Z13reduce_kernelILj64ELN6hipcub20BlockReduceAlgorithmE1EiEvPT1_S3_, .Lfunc_end23-_Z13reduce_kernelILj64ELN6hipcub20BlockReduceAlgorithmE1EiEvPT1_S3_
                                        ; -- End function
	.set _Z13reduce_kernelILj64ELN6hipcub20BlockReduceAlgorithmE1EiEvPT1_S3_.num_vgpr, 5
	.set _Z13reduce_kernelILj64ELN6hipcub20BlockReduceAlgorithmE1EiEvPT1_S3_.num_agpr, 0
	.set _Z13reduce_kernelILj64ELN6hipcub20BlockReduceAlgorithmE1EiEvPT1_S3_.numbered_sgpr, 8
	.set _Z13reduce_kernelILj64ELN6hipcub20BlockReduceAlgorithmE1EiEvPT1_S3_.num_named_barrier, 0
	.set _Z13reduce_kernelILj64ELN6hipcub20BlockReduceAlgorithmE1EiEvPT1_S3_.private_seg_size, 0
	.set _Z13reduce_kernelILj64ELN6hipcub20BlockReduceAlgorithmE1EiEvPT1_S3_.uses_vcc, 1
	.set _Z13reduce_kernelILj64ELN6hipcub20BlockReduceAlgorithmE1EiEvPT1_S3_.uses_flat_scratch, 0
	.set _Z13reduce_kernelILj64ELN6hipcub20BlockReduceAlgorithmE1EiEvPT1_S3_.has_dyn_sized_stack, 0
	.set _Z13reduce_kernelILj64ELN6hipcub20BlockReduceAlgorithmE1EiEvPT1_S3_.has_recursion, 0
	.set _Z13reduce_kernelILj64ELN6hipcub20BlockReduceAlgorithmE1EiEvPT1_S3_.has_indirect_call, 0
	.section	.AMDGPU.csdata,"",@progbits
; Kernel info:
; codeLenInByte = 276
; TotalNumSgprs: 12
; NumVgprs: 5
; ScratchSize: 0
; MemoryBound: 0
; FloatMode: 240
; IeeeMode: 1
; LDSByteSize: 256 bytes/workgroup (compile time only)
; SGPRBlocks: 1
; VGPRBlocks: 1
; NumSGPRsForWavesPerEU: 12
; NumVGPRsForWavesPerEU: 5
; Occupancy: 10
; WaveLimiterHint : 0
; COMPUTE_PGM_RSRC2:SCRATCH_EN: 0
; COMPUTE_PGM_RSRC2:USER_SGPR: 6
; COMPUTE_PGM_RSRC2:TRAP_HANDLER: 0
; COMPUTE_PGM_RSRC2:TGID_X_EN: 1
; COMPUTE_PGM_RSRC2:TGID_Y_EN: 0
; COMPUTE_PGM_RSRC2:TGID_Z_EN: 0
; COMPUTE_PGM_RSRC2:TIDIG_COMP_CNT: 0
	.section	.text._Z13reduce_kernelILj377ELN6hipcub20BlockReduceAlgorithmE0ElEvPT1_S3_,"axG",@progbits,_Z13reduce_kernelILj377ELN6hipcub20BlockReduceAlgorithmE0ElEvPT1_S3_,comdat
	.protected	_Z13reduce_kernelILj377ELN6hipcub20BlockReduceAlgorithmE0ElEvPT1_S3_ ; -- Begin function _Z13reduce_kernelILj377ELN6hipcub20BlockReduceAlgorithmE0ElEvPT1_S3_
	.globl	_Z13reduce_kernelILj377ELN6hipcub20BlockReduceAlgorithmE0ElEvPT1_S3_
	.p2align	8
	.type	_Z13reduce_kernelILj377ELN6hipcub20BlockReduceAlgorithmE0ElEvPT1_S3_,@function
_Z13reduce_kernelILj377ELN6hipcub20BlockReduceAlgorithmE0ElEvPT1_S3_: ; @_Z13reduce_kernelILj377ELN6hipcub20BlockReduceAlgorithmE0ElEvPT1_S3_
; %bb.0:
	s_load_dwordx4 s[0:3], s[4:5], 0x0
	s_mul_i32 s4, s6, 0x179
	v_add_u32_e32 v1, s4, v0
	v_mov_b32_e32 v2, 0
	v_lshlrev_b64 v[1:2], 3, v[1:2]
	s_waitcnt lgkmcnt(0)
	v_mov_b32_e32 v3, s1
	v_add_co_u32_e32 v1, vcc, s0, v1
	v_addc_co_u32_e32 v2, vcc, v3, v2, vcc
	global_load_dwordx2 v[1:2], v[1:2], off
	v_mbcnt_lo_u32_b32 v3, -1, 0
	v_mbcnt_hi_u32_b32 v3, -1, v3
	v_and_b32_e32 v6, 63, v3
	v_cmp_ne_u32_e32 vcc, 63, v6
	v_addc_co_u32_e32 v5, vcc, 0, v3, vcc
	v_lshlrev_b32_e32 v5, 2, v5
	s_movk_i32 s0, 0x180
	v_and_b32_e32 v4, 0x1c0, v0
	v_sub_u32_e32 v4, 0x179, v4
	v_cmp_gt_u32_e32 vcc, s0, v0
	v_cndmask_b32_e32 v4, 0, v4, vcc
	s_waitcnt vmcnt(0)
	ds_bpermute_b32 v8, v5, v1
	ds_bpermute_b32 v7, v5, v2
	v_add_u32_e32 v5, 1, v3
	v_cmp_lt_u32_e32 vcc, v5, v4
	v_mov_b32_e32 v5, v1
	s_and_saveexec_b64 s[0:1], vcc
	s_cbranch_execz .LBB24_2
; %bb.1:
	s_waitcnt lgkmcnt(1)
	v_add_co_u32_e32 v5, vcc, v1, v8
	v_addc_co_u32_e32 v2, vcc, 0, v2, vcc
	v_add_co_u32_e32 v1, vcc, 0, v5
	s_waitcnt lgkmcnt(0)
	v_addc_co_u32_e32 v2, vcc, v7, v2, vcc
.LBB24_2:
	s_or_b64 exec, exec, s[0:1]
	v_cmp_gt_u32_e32 vcc, 62, v6
	s_waitcnt lgkmcnt(0)
	v_cndmask_b32_e64 v7, 0, 2, vcc
	v_add_lshl_u32 v7, v7, v3, 2
	ds_bpermute_b32 v8, v7, v5
	ds_bpermute_b32 v7, v7, v2
	v_add_u32_e32 v9, 2, v3
	v_cmp_lt_u32_e32 vcc, v9, v4
	s_and_saveexec_b64 s[0:1], vcc
	s_cbranch_execz .LBB24_4
; %bb.3:
	s_waitcnt lgkmcnt(1)
	v_add_co_u32_e32 v5, vcc, v1, v8
	v_addc_co_u32_e32 v2, vcc, 0, v2, vcc
	v_add_co_u32_e32 v1, vcc, 0, v5
	s_waitcnt lgkmcnt(0)
	v_addc_co_u32_e32 v2, vcc, v7, v2, vcc
.LBB24_4:
	s_or_b64 exec, exec, s[0:1]
	v_cmp_gt_u32_e32 vcc, 60, v6
	s_waitcnt lgkmcnt(0)
	v_cndmask_b32_e64 v7, 0, 4, vcc
	v_add_lshl_u32 v7, v7, v3, 2
	ds_bpermute_b32 v8, v7, v5
	ds_bpermute_b32 v7, v7, v2
	v_add_u32_e32 v9, 4, v3
	v_cmp_lt_u32_e32 vcc, v9, v4
	;; [unrolled: 19-line block ×3, first 2 shown]
	s_and_saveexec_b64 s[0:1], vcc
	s_cbranch_execz .LBB24_8
; %bb.7:
	s_waitcnt lgkmcnt(1)
	v_add_co_u32_e32 v5, vcc, v1, v8
	v_addc_co_u32_e32 v2, vcc, 0, v2, vcc
	v_add_co_u32_e32 v1, vcc, 0, v5
	s_waitcnt lgkmcnt(0)
	v_addc_co_u32_e32 v2, vcc, v7, v2, vcc
.LBB24_8:
	s_or_b64 exec, exec, s[0:1]
	v_cmp_gt_u32_e32 vcc, 48, v6
	v_cndmask_b32_e64 v6, 0, 16, vcc
	v_add_lshl_u32 v6, v6, v3, 2
	s_waitcnt lgkmcnt(0)
	ds_bpermute_b32 v7, v6, v5
	ds_bpermute_b32 v6, v6, v2
	v_add_u32_e32 v8, 16, v3
	v_cmp_lt_u32_e32 vcc, v8, v4
	s_and_saveexec_b64 s[0:1], vcc
	s_cbranch_execz .LBB24_10
; %bb.9:
	s_waitcnt lgkmcnt(1)
	v_add_co_u32_e32 v5, vcc, v1, v7
	v_addc_co_u32_e32 v2, vcc, 0, v2, vcc
	v_add_co_u32_e32 v1, vcc, 0, v5
	s_waitcnt lgkmcnt(0)
	v_addc_co_u32_e32 v2, vcc, v6, v2, vcc
.LBB24_10:
	s_or_b64 exec, exec, s[0:1]
	s_waitcnt lgkmcnt(0)
	v_lshlrev_b32_e32 v6, 2, v3
	v_or_b32_e32 v7, 0x80, v6
	ds_bpermute_b32 v5, v7, v5
	ds_bpermute_b32 v7, v7, v2
	v_add_u32_e32 v8, 32, v3
	s_waitcnt lgkmcnt(1)
	v_add_co_u32_e32 v5, vcc, v1, v5
	v_addc_co_u32_e32 v9, vcc, 0, v2, vcc
	v_add_co_u32_e32 v5, vcc, 0, v5
	s_waitcnt lgkmcnt(0)
	v_addc_co_u32_e32 v7, vcc, v9, v7, vcc
	v_cmp_lt_u32_e32 vcc, v8, v4
	v_cndmask_b32_e32 v2, v2, v7, vcc
	v_cndmask_b32_e32 v1, v1, v5, vcc
	v_cmp_eq_u32_e32 vcc, 0, v3
	s_and_saveexec_b64 s[0:1], vcc
; %bb.11:
	v_lshrrev_b32_e32 v4, 3, v0
	v_and_b32_e32 v4, 56, v4
	ds_write_b64 v4, v[1:2]
; %bb.12:
	s_or_b64 exec, exec, s[0:1]
	v_cmp_gt_u32_e32 vcc, 64, v0
	s_waitcnt lgkmcnt(0)
	s_barrier
	s_and_saveexec_b64 s[0:1], vcc
	s_cbranch_execz .LBB24_18
; %bb.13:
	s_mov_b32 s4, 0x2aaaaaab
	v_mul_hi_u32 v1, v3, s4
	v_and_b32_e32 v4, 7, v3
	v_cmp_ne_u32_e32 vcc, 7, v4
	v_addc_co_u32_e32 v5, vcc, 0, v3, vcc
	v_mul_u32_u24_e32 v1, 6, v1
	v_sub_u32_e32 v1, v3, v1
	v_lshlrev_b32_e32 v1, 3, v1
	ds_read_b64 v[1:2], v1
	v_lshlrev_b32_e32 v5, 2, v5
	v_cmp_gt_u32_e32 vcc, 5, v4
	s_waitcnt lgkmcnt(0)
	ds_bpermute_b32 v8, v5, v1
	ds_bpermute_b32 v7, v5, v2
	v_mov_b32_e32 v5, v1
	s_and_saveexec_b64 s[4:5], vcc
	s_cbranch_execz .LBB24_15
; %bb.14:
	s_waitcnt lgkmcnt(1)
	v_add_co_u32_e32 v5, vcc, v1, v8
	v_addc_co_u32_e32 v2, vcc, 0, v2, vcc
	v_add_co_u32_e32 v1, vcc, 0, v5
	s_waitcnt lgkmcnt(0)
	v_addc_co_u32_e32 v2, vcc, v7, v2, vcc
.LBB24_15:
	s_or_b64 exec, exec, s[4:5]
	v_cmp_gt_u32_e32 vcc, 6, v4
	s_waitcnt lgkmcnt(0)
	v_cndmask_b32_e64 v7, 0, 2, vcc
	v_add_lshl_u32 v3, v7, v3, 2
	ds_bpermute_b32 v7, v3, v5
	ds_bpermute_b32 v3, v3, v2
	v_cmp_gt_u32_e32 vcc, 4, v4
	s_and_saveexec_b64 s[4:5], vcc
	s_cbranch_execz .LBB24_17
; %bb.16:
	s_waitcnt lgkmcnt(1)
	v_add_co_u32_e32 v5, vcc, v1, v7
	v_addc_co_u32_e32 v2, vcc, 0, v2, vcc
	v_add_co_u32_e32 v1, vcc, 0, v5
	s_waitcnt lgkmcnt(0)
	v_addc_co_u32_e32 v2, vcc, v3, v2, vcc
.LBB24_17:
	s_or_b64 exec, exec, s[4:5]
	s_waitcnt lgkmcnt(0)
	v_or_b32_e32 v3, 16, v6
	ds_bpermute_b32 v5, v3, v5
	ds_bpermute_b32 v3, v3, v2
	s_waitcnt lgkmcnt(1)
	v_add_co_u32_e32 v5, vcc, v1, v5
	v_addc_co_u32_e32 v6, vcc, 0, v2, vcc
	v_add_co_u32_e32 v5, vcc, 0, v5
	s_waitcnt lgkmcnt(0)
	v_addc_co_u32_e32 v3, vcc, v6, v3, vcc
	v_cmp_gt_u32_e32 vcc, 2, v4
	v_cndmask_b32_e32 v2, v2, v3, vcc
	v_cndmask_b32_e32 v1, v1, v5, vcc
.LBB24_18:
	s_or_b64 exec, exec, s[0:1]
	s_mov_b32 s7, 0
	v_cmp_eq_u32_e32 vcc, 0, v0
	s_and_saveexec_b64 s[0:1], vcc
	s_cbranch_execz .LBB24_20
; %bb.19:
	s_lshl_b64 s[0:1], s[6:7], 3
	s_add_u32 s0, s2, s0
	s_addc_u32 s1, s3, s1
	v_mov_b32_e32 v0, 0
	global_store_dwordx2 v0, v[1:2], s[0:1]
.LBB24_20:
	s_endpgm
	.section	.rodata,"a",@progbits
	.p2align	6, 0x0
	.amdhsa_kernel _Z13reduce_kernelILj377ELN6hipcub20BlockReduceAlgorithmE0ElEvPT1_S3_
		.amdhsa_group_segment_fixed_size 48
		.amdhsa_private_segment_fixed_size 0
		.amdhsa_kernarg_size 16
		.amdhsa_user_sgpr_count 6
		.amdhsa_user_sgpr_private_segment_buffer 1
		.amdhsa_user_sgpr_dispatch_ptr 0
		.amdhsa_user_sgpr_queue_ptr 0
		.amdhsa_user_sgpr_kernarg_segment_ptr 1
		.amdhsa_user_sgpr_dispatch_id 0
		.amdhsa_user_sgpr_flat_scratch_init 0
		.amdhsa_user_sgpr_private_segment_size 0
		.amdhsa_uses_dynamic_stack 0
		.amdhsa_system_sgpr_private_segment_wavefront_offset 0
		.amdhsa_system_sgpr_workgroup_id_x 1
		.amdhsa_system_sgpr_workgroup_id_y 0
		.amdhsa_system_sgpr_workgroup_id_z 0
		.amdhsa_system_sgpr_workgroup_info 0
		.amdhsa_system_vgpr_workitem_id 0
		.amdhsa_next_free_vgpr 10
		.amdhsa_next_free_sgpr 8
		.amdhsa_reserve_vcc 1
		.amdhsa_reserve_flat_scratch 0
		.amdhsa_float_round_mode_32 0
		.amdhsa_float_round_mode_16_64 0
		.amdhsa_float_denorm_mode_32 3
		.amdhsa_float_denorm_mode_16_64 3
		.amdhsa_dx10_clamp 1
		.amdhsa_ieee_mode 1
		.amdhsa_fp16_overflow 0
		.amdhsa_exception_fp_ieee_invalid_op 0
		.amdhsa_exception_fp_denorm_src 0
		.amdhsa_exception_fp_ieee_div_zero 0
		.amdhsa_exception_fp_ieee_overflow 0
		.amdhsa_exception_fp_ieee_underflow 0
		.amdhsa_exception_fp_ieee_inexact 0
		.amdhsa_exception_int_div_zero 0
	.end_amdhsa_kernel
	.section	.text._Z13reduce_kernelILj377ELN6hipcub20BlockReduceAlgorithmE0ElEvPT1_S3_,"axG",@progbits,_Z13reduce_kernelILj377ELN6hipcub20BlockReduceAlgorithmE0ElEvPT1_S3_,comdat
.Lfunc_end24:
	.size	_Z13reduce_kernelILj377ELN6hipcub20BlockReduceAlgorithmE0ElEvPT1_S3_, .Lfunc_end24-_Z13reduce_kernelILj377ELN6hipcub20BlockReduceAlgorithmE0ElEvPT1_S3_
                                        ; -- End function
	.set _Z13reduce_kernelILj377ELN6hipcub20BlockReduceAlgorithmE0ElEvPT1_S3_.num_vgpr, 10
	.set _Z13reduce_kernelILj377ELN6hipcub20BlockReduceAlgorithmE0ElEvPT1_S3_.num_agpr, 0
	.set _Z13reduce_kernelILj377ELN6hipcub20BlockReduceAlgorithmE0ElEvPT1_S3_.numbered_sgpr, 8
	.set _Z13reduce_kernelILj377ELN6hipcub20BlockReduceAlgorithmE0ElEvPT1_S3_.num_named_barrier, 0
	.set _Z13reduce_kernelILj377ELN6hipcub20BlockReduceAlgorithmE0ElEvPT1_S3_.private_seg_size, 0
	.set _Z13reduce_kernelILj377ELN6hipcub20BlockReduceAlgorithmE0ElEvPT1_S3_.uses_vcc, 1
	.set _Z13reduce_kernelILj377ELN6hipcub20BlockReduceAlgorithmE0ElEvPT1_S3_.uses_flat_scratch, 0
	.set _Z13reduce_kernelILj377ELN6hipcub20BlockReduceAlgorithmE0ElEvPT1_S3_.has_dyn_sized_stack, 0
	.set _Z13reduce_kernelILj377ELN6hipcub20BlockReduceAlgorithmE0ElEvPT1_S3_.has_recursion, 0
	.set _Z13reduce_kernelILj377ELN6hipcub20BlockReduceAlgorithmE0ElEvPT1_S3_.has_indirect_call, 0
	.section	.AMDGPU.csdata,"",@progbits
; Kernel info:
; codeLenInByte = 944
; TotalNumSgprs: 12
; NumVgprs: 10
; ScratchSize: 0
; MemoryBound: 0
; FloatMode: 240
; IeeeMode: 1
; LDSByteSize: 48 bytes/workgroup (compile time only)
; SGPRBlocks: 1
; VGPRBlocks: 2
; NumSGPRsForWavesPerEU: 12
; NumVGPRsForWavesPerEU: 10
; Occupancy: 10
; WaveLimiterHint : 0
; COMPUTE_PGM_RSRC2:SCRATCH_EN: 0
; COMPUTE_PGM_RSRC2:USER_SGPR: 6
; COMPUTE_PGM_RSRC2:TRAP_HANDLER: 0
; COMPUTE_PGM_RSRC2:TGID_X_EN: 1
; COMPUTE_PGM_RSRC2:TGID_Y_EN: 0
; COMPUTE_PGM_RSRC2:TGID_Z_EN: 0
; COMPUTE_PGM_RSRC2:TIDIG_COMP_CNT: 0
	.section	.text._Z13reduce_kernelILj256ELN6hipcub20BlockReduceAlgorithmE0ElEvPT1_S3_,"axG",@progbits,_Z13reduce_kernelILj256ELN6hipcub20BlockReduceAlgorithmE0ElEvPT1_S3_,comdat
	.protected	_Z13reduce_kernelILj256ELN6hipcub20BlockReduceAlgorithmE0ElEvPT1_S3_ ; -- Begin function _Z13reduce_kernelILj256ELN6hipcub20BlockReduceAlgorithmE0ElEvPT1_S3_
	.globl	_Z13reduce_kernelILj256ELN6hipcub20BlockReduceAlgorithmE0ElEvPT1_S3_
	.p2align	8
	.type	_Z13reduce_kernelILj256ELN6hipcub20BlockReduceAlgorithmE0ElEvPT1_S3_,@function
_Z13reduce_kernelILj256ELN6hipcub20BlockReduceAlgorithmE0ElEvPT1_S3_: ; @_Z13reduce_kernelILj256ELN6hipcub20BlockReduceAlgorithmE0ElEvPT1_S3_
; %bb.0:
	s_load_dwordx4 s[0:3], s[4:5], 0x0
	v_lshl_or_b32 v1, s6, 8, v0
	v_mov_b32_e32 v2, 0
	v_lshlrev_b64 v[1:2], 3, v[1:2]
	s_waitcnt lgkmcnt(0)
	v_mov_b32_e32 v3, s1
	v_add_co_u32_e32 v1, vcc, s0, v1
	v_addc_co_u32_e32 v2, vcc, v3, v2, vcc
	global_load_dwordx2 v[1:2], v[1:2], off
	v_mbcnt_lo_u32_b32 v3, -1, 0
	v_mbcnt_hi_u32_b32 v3, -1, v3
	v_lshlrev_b32_e32 v4, 2, v3
	v_or_b32_e32 v5, 0xfc, v4
	s_waitcnt vmcnt(0)
	v_mov_b32_dpp v6, v1 quad_perm:[1,0,3,2] row_mask:0xf bank_mask:0xf
	v_add_co_u32_e32 v1, vcc, v1, v6
	v_mov_b32_dpp v7, v2 quad_perm:[1,0,3,2] row_mask:0xf bank_mask:0xf
	v_addc_co_u32_e32 v2, vcc, 0, v2, vcc
	v_add_co_u32_e32 v6, vcc, 0, v1
	v_addc_co_u32_e32 v2, vcc, v7, v2, vcc
	v_mov_b32_dpp v1, v1 quad_perm:[2,3,0,1] row_mask:0xf bank_mask:0xf
	v_add_co_u32_e32 v1, vcc, v6, v1
	v_mov_b32_dpp v7, v2 quad_perm:[2,3,0,1] row_mask:0xf bank_mask:0xf
	v_addc_co_u32_e32 v2, vcc, 0, v2, vcc
	v_add_co_u32_e32 v6, vcc, 0, v1
	v_addc_co_u32_e32 v2, vcc, v2, v7, vcc
	v_mov_b32_dpp v1, v1 row_ror:4 row_mask:0xf bank_mask:0xf
	v_add_co_u32_e32 v1, vcc, v6, v1
	v_mov_b32_dpp v7, v2 row_ror:4 row_mask:0xf bank_mask:0xf
	v_addc_co_u32_e32 v2, vcc, 0, v2, vcc
	v_add_co_u32_e32 v6, vcc, 0, v1
	v_addc_co_u32_e32 v2, vcc, v2, v7, vcc
	v_mov_b32_dpp v1, v1 row_ror:8 row_mask:0xf bank_mask:0xf
	v_add_co_u32_e32 v1, vcc, v6, v1
	v_mov_b32_dpp v7, v2 row_ror:8 row_mask:0xf bank_mask:0xf
	v_addc_co_u32_e32 v2, vcc, 0, v2, vcc
	v_add_co_u32_e32 v6, vcc, 0, v1
	v_addc_co_u32_e32 v2, vcc, v2, v7, vcc
	v_mov_b32_dpp v1, v1 row_bcast:15 row_mask:0xf bank_mask:0xf
	v_add_co_u32_e32 v1, vcc, v6, v1
	v_mov_b32_dpp v7, v2 row_bcast:15 row_mask:0xf bank_mask:0xf
	v_addc_co_u32_e32 v2, vcc, 0, v2, vcc
	v_add_co_u32_e32 v6, vcc, 0, v1
	v_addc_co_u32_e32 v2, vcc, v2, v7, vcc
	v_mov_b32_dpp v1, v1 row_bcast:31 row_mask:0xf bank_mask:0xf
	v_add_co_u32_e32 v1, vcc, v6, v1
	v_mov_b32_dpp v7, v2 row_bcast:31 row_mask:0xf bank_mask:0xf
	v_addc_co_u32_e32 v2, vcc, 0, v2, vcc
	v_add_u32_e32 v2, v7, v2
	ds_bpermute_b32 v1, v5, v1
	ds_bpermute_b32 v2, v5, v2
	v_cmp_eq_u32_e32 vcc, 0, v3
	s_and_saveexec_b64 s[0:1], vcc
	s_cbranch_execz .LBB25_2
; %bb.1:
	v_lshrrev_b32_e32 v5, 3, v0
	v_and_b32_e32 v5, 24, v5
	s_waitcnt lgkmcnt(0)
	ds_write_b64 v5, v[1:2]
.LBB25_2:
	s_or_b64 exec, exec, s[0:1]
	v_cmp_gt_u32_e32 vcc, 64, v0
	s_waitcnt lgkmcnt(0)
	s_barrier
	s_and_saveexec_b64 s[0:1], vcc
	s_cbranch_execz .LBB25_4
; %bb.3:
	v_and_b32_e32 v5, 3, v3
	v_lshlrev_b32_e32 v1, 3, v5
	ds_read_b64 v[1:2], v1
	v_cmp_ne_u32_e32 vcc, 3, v5
	v_addc_co_u32_e32 v3, vcc, 0, v3, vcc
	v_lshlrev_b32_e32 v3, 2, v3
	s_waitcnt lgkmcnt(0)
	ds_bpermute_b32 v5, v3, v1
	ds_bpermute_b32 v3, v3, v2
	v_or_b32_e32 v4, 8, v4
	s_waitcnt lgkmcnt(1)
	v_add_co_u32_e32 v1, vcc, v1, v5
	v_addc_co_u32_e32 v2, vcc, 0, v2, vcc
	ds_bpermute_b32 v5, v4, v1
	v_add_co_u32_e32 v1, vcc, 0, v1
	s_waitcnt lgkmcnt(1)
	v_addc_co_u32_e32 v2, vcc, v3, v2, vcc
	ds_bpermute_b32 v3, v4, v2
	s_waitcnt lgkmcnt(1)
	v_add_co_u32_e32 v1, vcc, v1, v5
	v_addc_co_u32_e32 v2, vcc, 0, v2, vcc
	v_add_co_u32_e32 v1, vcc, 0, v1
	s_waitcnt lgkmcnt(0)
	v_addc_co_u32_e32 v2, vcc, v2, v3, vcc
.LBB25_4:
	s_or_b64 exec, exec, s[0:1]
	s_mov_b32 s7, 0
	v_cmp_eq_u32_e32 vcc, 0, v0
	s_and_saveexec_b64 s[0:1], vcc
	s_cbranch_execz .LBB25_6
; %bb.5:
	s_lshl_b64 s[0:1], s[6:7], 3
	s_add_u32 s0, s2, s0
	s_addc_u32 s1, s3, s1
	v_mov_b32_e32 v0, 0
	global_store_dwordx2 v0, v[1:2], s[0:1]
.LBB25_6:
	s_endpgm
	.section	.rodata,"a",@progbits
	.p2align	6, 0x0
	.amdhsa_kernel _Z13reduce_kernelILj256ELN6hipcub20BlockReduceAlgorithmE0ElEvPT1_S3_
		.amdhsa_group_segment_fixed_size 32
		.amdhsa_private_segment_fixed_size 0
		.amdhsa_kernarg_size 16
		.amdhsa_user_sgpr_count 6
		.amdhsa_user_sgpr_private_segment_buffer 1
		.amdhsa_user_sgpr_dispatch_ptr 0
		.amdhsa_user_sgpr_queue_ptr 0
		.amdhsa_user_sgpr_kernarg_segment_ptr 1
		.amdhsa_user_sgpr_dispatch_id 0
		.amdhsa_user_sgpr_flat_scratch_init 0
		.amdhsa_user_sgpr_private_segment_size 0
		.amdhsa_uses_dynamic_stack 0
		.amdhsa_system_sgpr_private_segment_wavefront_offset 0
		.amdhsa_system_sgpr_workgroup_id_x 1
		.amdhsa_system_sgpr_workgroup_id_y 0
		.amdhsa_system_sgpr_workgroup_id_z 0
		.amdhsa_system_sgpr_workgroup_info 0
		.amdhsa_system_vgpr_workitem_id 0
		.amdhsa_next_free_vgpr 8
		.amdhsa_next_free_sgpr 8
		.amdhsa_reserve_vcc 1
		.amdhsa_reserve_flat_scratch 0
		.amdhsa_float_round_mode_32 0
		.amdhsa_float_round_mode_16_64 0
		.amdhsa_float_denorm_mode_32 3
		.amdhsa_float_denorm_mode_16_64 3
		.amdhsa_dx10_clamp 1
		.amdhsa_ieee_mode 1
		.amdhsa_fp16_overflow 0
		.amdhsa_exception_fp_ieee_invalid_op 0
		.amdhsa_exception_fp_denorm_src 0
		.amdhsa_exception_fp_ieee_div_zero 0
		.amdhsa_exception_fp_ieee_overflow 0
		.amdhsa_exception_fp_ieee_underflow 0
		.amdhsa_exception_fp_ieee_inexact 0
		.amdhsa_exception_int_div_zero 0
	.end_amdhsa_kernel
	.section	.text._Z13reduce_kernelILj256ELN6hipcub20BlockReduceAlgorithmE0ElEvPT1_S3_,"axG",@progbits,_Z13reduce_kernelILj256ELN6hipcub20BlockReduceAlgorithmE0ElEvPT1_S3_,comdat
.Lfunc_end25:
	.size	_Z13reduce_kernelILj256ELN6hipcub20BlockReduceAlgorithmE0ElEvPT1_S3_, .Lfunc_end25-_Z13reduce_kernelILj256ELN6hipcub20BlockReduceAlgorithmE0ElEvPT1_S3_
                                        ; -- End function
	.set _Z13reduce_kernelILj256ELN6hipcub20BlockReduceAlgorithmE0ElEvPT1_S3_.num_vgpr, 8
	.set _Z13reduce_kernelILj256ELN6hipcub20BlockReduceAlgorithmE0ElEvPT1_S3_.num_agpr, 0
	.set _Z13reduce_kernelILj256ELN6hipcub20BlockReduceAlgorithmE0ElEvPT1_S3_.numbered_sgpr, 8
	.set _Z13reduce_kernelILj256ELN6hipcub20BlockReduceAlgorithmE0ElEvPT1_S3_.num_named_barrier, 0
	.set _Z13reduce_kernelILj256ELN6hipcub20BlockReduceAlgorithmE0ElEvPT1_S3_.private_seg_size, 0
	.set _Z13reduce_kernelILj256ELN6hipcub20BlockReduceAlgorithmE0ElEvPT1_S3_.uses_vcc, 1
	.set _Z13reduce_kernelILj256ELN6hipcub20BlockReduceAlgorithmE0ElEvPT1_S3_.uses_flat_scratch, 0
	.set _Z13reduce_kernelILj256ELN6hipcub20BlockReduceAlgorithmE0ElEvPT1_S3_.has_dyn_sized_stack, 0
	.set _Z13reduce_kernelILj256ELN6hipcub20BlockReduceAlgorithmE0ElEvPT1_S3_.has_recursion, 0
	.set _Z13reduce_kernelILj256ELN6hipcub20BlockReduceAlgorithmE0ElEvPT1_S3_.has_indirect_call, 0
	.section	.AMDGPU.csdata,"",@progbits
; Kernel info:
; codeLenInByte = 508
; TotalNumSgprs: 12
; NumVgprs: 8
; ScratchSize: 0
; MemoryBound: 0
; FloatMode: 240
; IeeeMode: 1
; LDSByteSize: 32 bytes/workgroup (compile time only)
; SGPRBlocks: 1
; VGPRBlocks: 1
; NumSGPRsForWavesPerEU: 12
; NumVGPRsForWavesPerEU: 8
; Occupancy: 10
; WaveLimiterHint : 0
; COMPUTE_PGM_RSRC2:SCRATCH_EN: 0
; COMPUTE_PGM_RSRC2:USER_SGPR: 6
; COMPUTE_PGM_RSRC2:TRAP_HANDLER: 0
; COMPUTE_PGM_RSRC2:TGID_X_EN: 1
; COMPUTE_PGM_RSRC2:TGID_Y_EN: 0
; COMPUTE_PGM_RSRC2:TGID_Z_EN: 0
; COMPUTE_PGM_RSRC2:TIDIG_COMP_CNT: 0
	.section	.text._Z13reduce_kernelILj64ELN6hipcub20BlockReduceAlgorithmE0ElEvPT1_S3_,"axG",@progbits,_Z13reduce_kernelILj64ELN6hipcub20BlockReduceAlgorithmE0ElEvPT1_S3_,comdat
	.protected	_Z13reduce_kernelILj64ELN6hipcub20BlockReduceAlgorithmE0ElEvPT1_S3_ ; -- Begin function _Z13reduce_kernelILj64ELN6hipcub20BlockReduceAlgorithmE0ElEvPT1_S3_
	.globl	_Z13reduce_kernelILj64ELN6hipcub20BlockReduceAlgorithmE0ElEvPT1_S3_
	.p2align	8
	.type	_Z13reduce_kernelILj64ELN6hipcub20BlockReduceAlgorithmE0ElEvPT1_S3_,@function
_Z13reduce_kernelILj64ELN6hipcub20BlockReduceAlgorithmE0ElEvPT1_S3_: ; @_Z13reduce_kernelILj64ELN6hipcub20BlockReduceAlgorithmE0ElEvPT1_S3_
; %bb.0:
	s_load_dwordx4 s[0:3], s[4:5], 0x0
	v_lshl_or_b32 v1, s6, 6, v0
	v_mov_b32_e32 v2, 0
	v_lshlrev_b64 v[3:4], 3, v[1:2]
	v_bfrev_b32_e32 v5, 0.5
	s_waitcnt lgkmcnt(0)
	v_mov_b32_e32 v1, s1
	v_add_co_u32_e32 v3, vcc, s0, v3
	v_addc_co_u32_e32 v4, vcc, v1, v4, vcc
	global_load_dwordx2 v[3:4], v[3:4], off
	v_mbcnt_lo_u32_b32 v1, -1, 0
	v_mbcnt_hi_u32_b32 v1, -1, v1
	v_lshl_or_b32 v1, v1, 2, v5
	s_mov_b32 s7, 0
	s_waitcnt vmcnt(0)
	v_mov_b32_dpp v5, v3 quad_perm:[1,0,3,2] row_mask:0xf bank_mask:0xf
	v_add_co_u32_e32 v3, vcc, v3, v5
	v_mov_b32_dpp v6, v4 quad_perm:[1,0,3,2] row_mask:0xf bank_mask:0xf
	v_addc_co_u32_e32 v4, vcc, 0, v4, vcc
	v_add_co_u32_e32 v5, vcc, 0, v3
	v_addc_co_u32_e32 v4, vcc, v6, v4, vcc
	v_mov_b32_dpp v3, v3 quad_perm:[2,3,0,1] row_mask:0xf bank_mask:0xf
	v_add_co_u32_e32 v3, vcc, v5, v3
	v_mov_b32_dpp v6, v4 quad_perm:[2,3,0,1] row_mask:0xf bank_mask:0xf
	v_addc_co_u32_e32 v4, vcc, 0, v4, vcc
	v_add_co_u32_e32 v5, vcc, 0, v3
	v_addc_co_u32_e32 v4, vcc, v4, v6, vcc
	v_mov_b32_dpp v3, v3 row_ror:4 row_mask:0xf bank_mask:0xf
	v_add_co_u32_e32 v3, vcc, v5, v3
	v_mov_b32_dpp v6, v4 row_ror:4 row_mask:0xf bank_mask:0xf
	v_addc_co_u32_e32 v4, vcc, 0, v4, vcc
	v_add_co_u32_e32 v5, vcc, 0, v3
	v_addc_co_u32_e32 v4, vcc, v4, v6, vcc
	v_mov_b32_dpp v3, v3 row_ror:8 row_mask:0xf bank_mask:0xf
	v_add_co_u32_e32 v3, vcc, v5, v3
	v_mov_b32_dpp v6, v4 row_ror:8 row_mask:0xf bank_mask:0xf
	v_addc_co_u32_e32 v4, vcc, 0, v4, vcc
	v_add_co_u32_e32 v5, vcc, 0, v3
	v_addc_co_u32_e32 v4, vcc, v4, v6, vcc
	v_mov_b32_dpp v3, v3 row_bcast:15 row_mask:0xf bank_mask:0xf
	v_add_co_u32_e32 v3, vcc, v5, v3
	v_mov_b32_dpp v6, v4 row_bcast:15 row_mask:0xf bank_mask:0xf
	v_addc_co_u32_e32 v4, vcc, 0, v4, vcc
	v_add_co_u32_e32 v5, vcc, 0, v3
	v_addc_co_u32_e32 v4, vcc, v4, v6, vcc
	v_mov_b32_dpp v3, v3 row_bcast:31 row_mask:0xf bank_mask:0xf
	v_add_co_u32_e32 v3, vcc, v5, v3
	v_mov_b32_dpp v6, v4 row_bcast:31 row_mask:0xf bank_mask:0xf
	v_addc_co_u32_e32 v4, vcc, 0, v4, vcc
	v_add_u32_e32 v4, v6, v4
	ds_bpermute_b32 v3, v1, v3
	ds_bpermute_b32 v4, v1, v4
	v_cmp_eq_u32_e32 vcc, 0, v0
	s_and_saveexec_b64 s[0:1], vcc
	s_cbranch_execz .LBB26_2
; %bb.1:
	s_lshl_b64 s[0:1], s[6:7], 3
	s_add_u32 s0, s2, s0
	s_addc_u32 s1, s3, s1
	s_waitcnt lgkmcnt(0)
	global_store_dwordx2 v2, v[3:4], s[0:1]
.LBB26_2:
	s_endpgm
	.section	.rodata,"a",@progbits
	.p2align	6, 0x0
	.amdhsa_kernel _Z13reduce_kernelILj64ELN6hipcub20BlockReduceAlgorithmE0ElEvPT1_S3_
		.amdhsa_group_segment_fixed_size 0
		.amdhsa_private_segment_fixed_size 0
		.amdhsa_kernarg_size 16
		.amdhsa_user_sgpr_count 6
		.amdhsa_user_sgpr_private_segment_buffer 1
		.amdhsa_user_sgpr_dispatch_ptr 0
		.amdhsa_user_sgpr_queue_ptr 0
		.amdhsa_user_sgpr_kernarg_segment_ptr 1
		.amdhsa_user_sgpr_dispatch_id 0
		.amdhsa_user_sgpr_flat_scratch_init 0
		.amdhsa_user_sgpr_private_segment_size 0
		.amdhsa_uses_dynamic_stack 0
		.amdhsa_system_sgpr_private_segment_wavefront_offset 0
		.amdhsa_system_sgpr_workgroup_id_x 1
		.amdhsa_system_sgpr_workgroup_id_y 0
		.amdhsa_system_sgpr_workgroup_id_z 0
		.amdhsa_system_sgpr_workgroup_info 0
		.amdhsa_system_vgpr_workitem_id 0
		.amdhsa_next_free_vgpr 7
		.amdhsa_next_free_sgpr 8
		.amdhsa_reserve_vcc 1
		.amdhsa_reserve_flat_scratch 0
		.amdhsa_float_round_mode_32 0
		.amdhsa_float_round_mode_16_64 0
		.amdhsa_float_denorm_mode_32 3
		.amdhsa_float_denorm_mode_16_64 3
		.amdhsa_dx10_clamp 1
		.amdhsa_ieee_mode 1
		.amdhsa_fp16_overflow 0
		.amdhsa_exception_fp_ieee_invalid_op 0
		.amdhsa_exception_fp_denorm_src 0
		.amdhsa_exception_fp_ieee_div_zero 0
		.amdhsa_exception_fp_ieee_overflow 0
		.amdhsa_exception_fp_ieee_underflow 0
		.amdhsa_exception_fp_ieee_inexact 0
		.amdhsa_exception_int_div_zero 0
	.end_amdhsa_kernel
	.section	.text._Z13reduce_kernelILj64ELN6hipcub20BlockReduceAlgorithmE0ElEvPT1_S3_,"axG",@progbits,_Z13reduce_kernelILj64ELN6hipcub20BlockReduceAlgorithmE0ElEvPT1_S3_,comdat
.Lfunc_end26:
	.size	_Z13reduce_kernelILj64ELN6hipcub20BlockReduceAlgorithmE0ElEvPT1_S3_, .Lfunc_end26-_Z13reduce_kernelILj64ELN6hipcub20BlockReduceAlgorithmE0ElEvPT1_S3_
                                        ; -- End function
	.set _Z13reduce_kernelILj64ELN6hipcub20BlockReduceAlgorithmE0ElEvPT1_S3_.num_vgpr, 7
	.set _Z13reduce_kernelILj64ELN6hipcub20BlockReduceAlgorithmE0ElEvPT1_S3_.num_agpr, 0
	.set _Z13reduce_kernelILj64ELN6hipcub20BlockReduceAlgorithmE0ElEvPT1_S3_.numbered_sgpr, 8
	.set _Z13reduce_kernelILj64ELN6hipcub20BlockReduceAlgorithmE0ElEvPT1_S3_.num_named_barrier, 0
	.set _Z13reduce_kernelILj64ELN6hipcub20BlockReduceAlgorithmE0ElEvPT1_S3_.private_seg_size, 0
	.set _Z13reduce_kernelILj64ELN6hipcub20BlockReduceAlgorithmE0ElEvPT1_S3_.uses_vcc, 1
	.set _Z13reduce_kernelILj64ELN6hipcub20BlockReduceAlgorithmE0ElEvPT1_S3_.uses_flat_scratch, 0
	.set _Z13reduce_kernelILj64ELN6hipcub20BlockReduceAlgorithmE0ElEvPT1_S3_.has_dyn_sized_stack, 0
	.set _Z13reduce_kernelILj64ELN6hipcub20BlockReduceAlgorithmE0ElEvPT1_S3_.has_recursion, 0
	.set _Z13reduce_kernelILj64ELN6hipcub20BlockReduceAlgorithmE0ElEvPT1_S3_.has_indirect_call, 0
	.section	.AMDGPU.csdata,"",@progbits
; Kernel info:
; codeLenInByte = 332
; TotalNumSgprs: 12
; NumVgprs: 7
; ScratchSize: 0
; MemoryBound: 0
; FloatMode: 240
; IeeeMode: 1
; LDSByteSize: 0 bytes/workgroup (compile time only)
; SGPRBlocks: 1
; VGPRBlocks: 1
; NumSGPRsForWavesPerEU: 12
; NumVGPRsForWavesPerEU: 7
; Occupancy: 10
; WaveLimiterHint : 0
; COMPUTE_PGM_RSRC2:SCRATCH_EN: 0
; COMPUTE_PGM_RSRC2:USER_SGPR: 6
; COMPUTE_PGM_RSRC2:TRAP_HANDLER: 0
; COMPUTE_PGM_RSRC2:TGID_X_EN: 1
; COMPUTE_PGM_RSRC2:TGID_Y_EN: 0
; COMPUTE_PGM_RSRC2:TGID_Z_EN: 0
; COMPUTE_PGM_RSRC2:TIDIG_COMP_CNT: 0
	.section	.text._Z13reduce_kernelILj377ELN6hipcub20BlockReduceAlgorithmE0EjEvPT1_S3_,"axG",@progbits,_Z13reduce_kernelILj377ELN6hipcub20BlockReduceAlgorithmE0EjEvPT1_S3_,comdat
	.protected	_Z13reduce_kernelILj377ELN6hipcub20BlockReduceAlgorithmE0EjEvPT1_S3_ ; -- Begin function _Z13reduce_kernelILj377ELN6hipcub20BlockReduceAlgorithmE0EjEvPT1_S3_
	.globl	_Z13reduce_kernelILj377ELN6hipcub20BlockReduceAlgorithmE0EjEvPT1_S3_
	.p2align	8
	.type	_Z13reduce_kernelILj377ELN6hipcub20BlockReduceAlgorithmE0EjEvPT1_S3_,@function
_Z13reduce_kernelILj377ELN6hipcub20BlockReduceAlgorithmE0EjEvPT1_S3_: ; @_Z13reduce_kernelILj377ELN6hipcub20BlockReduceAlgorithmE0EjEvPT1_S3_
; %bb.0:
	s_load_dwordx4 s[0:3], s[4:5], 0x0
	s_mul_i32 s4, s6, 0x179
	v_add_u32_e32 v1, s4, v0
	v_mov_b32_e32 v2, 0
	v_lshlrev_b64 v[1:2], 2, v[1:2]
	s_waitcnt lgkmcnt(0)
	v_mov_b32_e32 v3, s1
	v_add_co_u32_e32 v1, vcc, s0, v1
	v_addc_co_u32_e32 v2, vcc, v3, v2, vcc
	global_load_dword v2, v[1:2], off
	v_mbcnt_lo_u32_b32 v1, -1, 0
	s_movk_i32 s0, 0x180
	v_mbcnt_hi_u32_b32 v1, -1, v1
	v_and_b32_e32 v3, 0x1c0, v0
	v_sub_u32_e32 v3, 0x179, v3
	v_and_b32_e32 v4, 63, v1
	v_cmp_gt_u32_e32 vcc, s0, v0
	v_cndmask_b32_e32 v3, 0, v3, vcc
	v_cmp_ne_u32_e32 vcc, 63, v4
	v_addc_co_u32_e32 v9, vcc, 0, v1, vcc
	v_lshlrev_b32_e32 v9, 2, v9
	v_add_u32_e32 v5, 1, v1
	v_cmp_gt_u32_e32 vcc, 62, v4
	v_cndmask_b32_e64 v10, 0, 2, vcc
	v_cmp_lt_u32_e32 vcc, v5, v3
	v_add_lshl_u32 v10, v10, v1, 2
	v_add_u32_e32 v6, 2, v1
	v_add_u32_e32 v7, 4, v1
	;; [unrolled: 1-line block ×3, first 2 shown]
	s_waitcnt vmcnt(0)
	ds_bpermute_b32 v9, v9, v2
	s_waitcnt lgkmcnt(0)
	v_cndmask_b32_e32 v5, 0, v9, vcc
	v_add_u32_e32 v2, v5, v2
	ds_bpermute_b32 v5, v10, v2
	v_cmp_gt_u32_e32 vcc, 60, v4
	v_cndmask_b32_e64 v9, 0, 4, vcc
	v_cmp_lt_u32_e32 vcc, v6, v3
	v_add_lshl_u32 v9, v9, v1, 2
	s_waitcnt lgkmcnt(0)
	v_cndmask_b32_e32 v5, 0, v5, vcc
	v_add_u32_e32 v2, v2, v5
	ds_bpermute_b32 v5, v9, v2
	v_cmp_gt_u32_e32 vcc, 56, v4
	v_cndmask_b32_e64 v6, 0, 8, vcc
	v_cmp_lt_u32_e32 vcc, v7, v3
	v_add_lshl_u32 v6, v6, v1, 2
	;; [unrolled: 8-line block ×3, first 2 shown]
	s_waitcnt lgkmcnt(0)
	v_cndmask_b32_e32 v5, 0, v5, vcc
	v_add_u32_e32 v5, v2, v5
	ds_bpermute_b32 v4, v4, v5
	v_add_u32_e32 v6, 16, v1
	v_cmp_lt_u32_e32 vcc, v6, v3
	v_lshlrev_b32_e32 v2, 2, v1
	v_or_b32_e32 v7, 0x80, v2
	s_waitcnt lgkmcnt(0)
	v_cndmask_b32_e32 v4, 0, v4, vcc
	v_add_u32_e32 v4, v5, v4
	ds_bpermute_b32 v5, v7, v4
	v_add_u32_e32 v6, 32, v1
	v_cmp_lt_u32_e32 vcc, v6, v3
	s_waitcnt lgkmcnt(0)
	v_cndmask_b32_e32 v3, 0, v5, vcc
	v_add_u32_e32 v3, v4, v3
	v_cmp_eq_u32_e32 vcc, 0, v1
	s_and_saveexec_b64 s[0:1], vcc
; %bb.1:
	v_lshrrev_b32_e32 v4, 4, v0
	v_and_b32_e32 v4, 28, v4
	ds_write_b32 v4, v3
; %bb.2:
	s_or_b64 exec, exec, s[0:1]
	v_cmp_gt_u32_e32 vcc, 64, v0
	s_waitcnt lgkmcnt(0)
	s_barrier
	s_and_saveexec_b64 s[0:1], vcc
	s_cbranch_execz .LBB27_4
; %bb.3:
	s_mov_b32 s4, 0x2aaaaaab
	v_mul_hi_u32 v3, v1, s4
	v_and_b32_e32 v4, 7, v1
	v_cmp_ne_u32_e32 vcc, 7, v4
	v_addc_co_u32_e32 v5, vcc, 0, v1, vcc
	v_mul_u32_u24_e32 v3, 6, v3
	v_sub_u32_e32 v3, v1, v3
	v_lshlrev_b32_e32 v3, 2, v3
	ds_read_b32 v3, v3
	v_lshlrev_b32_e32 v5, 2, v5
	v_cmp_gt_u32_e32 vcc, 6, v4
	v_cndmask_b32_e64 v6, 0, 2, vcc
	v_cmp_gt_u32_e32 vcc, 5, v4
	s_waitcnt lgkmcnt(0)
	ds_bpermute_b32 v5, v5, v3
	v_add_lshl_u32 v1, v6, v1, 2
	v_or_b32_e32 v2, 16, v2
	s_waitcnt lgkmcnt(0)
	v_cndmask_b32_e32 v5, 0, v5, vcc
	v_add_u32_e32 v3, v5, v3
	ds_bpermute_b32 v1, v1, v3
	v_cmp_gt_u32_e32 vcc, 4, v4
	s_waitcnt lgkmcnt(0)
	v_cndmask_b32_e32 v1, 0, v1, vcc
	v_add_u32_e32 v1, v3, v1
	ds_bpermute_b32 v2, v2, v1
	v_cmp_gt_u32_e32 vcc, 2, v4
	s_waitcnt lgkmcnt(0)
	v_cndmask_b32_e32 v2, 0, v2, vcc
	v_add_u32_e32 v3, v1, v2
.LBB27_4:
	s_or_b64 exec, exec, s[0:1]
	s_mov_b32 s7, 0
	v_cmp_eq_u32_e32 vcc, 0, v0
	s_and_saveexec_b64 s[0:1], vcc
	s_cbranch_execz .LBB27_6
; %bb.5:
	s_lshl_b64 s[0:1], s[6:7], 2
	s_add_u32 s0, s2, s0
	s_addc_u32 s1, s3, s1
	v_mov_b32_e32 v0, 0
	global_store_dword v0, v3, s[0:1]
.LBB27_6:
	s_endpgm
	.section	.rodata,"a",@progbits
	.p2align	6, 0x0
	.amdhsa_kernel _Z13reduce_kernelILj377ELN6hipcub20BlockReduceAlgorithmE0EjEvPT1_S3_
		.amdhsa_group_segment_fixed_size 24
		.amdhsa_private_segment_fixed_size 0
		.amdhsa_kernarg_size 16
		.amdhsa_user_sgpr_count 6
		.amdhsa_user_sgpr_private_segment_buffer 1
		.amdhsa_user_sgpr_dispatch_ptr 0
		.amdhsa_user_sgpr_queue_ptr 0
		.amdhsa_user_sgpr_kernarg_segment_ptr 1
		.amdhsa_user_sgpr_dispatch_id 0
		.amdhsa_user_sgpr_flat_scratch_init 0
		.amdhsa_user_sgpr_private_segment_size 0
		.amdhsa_uses_dynamic_stack 0
		.amdhsa_system_sgpr_private_segment_wavefront_offset 0
		.amdhsa_system_sgpr_workgroup_id_x 1
		.amdhsa_system_sgpr_workgroup_id_y 0
		.amdhsa_system_sgpr_workgroup_id_z 0
		.amdhsa_system_sgpr_workgroup_info 0
		.amdhsa_system_vgpr_workitem_id 0
		.amdhsa_next_free_vgpr 11
		.amdhsa_next_free_sgpr 8
		.amdhsa_reserve_vcc 1
		.amdhsa_reserve_flat_scratch 0
		.amdhsa_float_round_mode_32 0
		.amdhsa_float_round_mode_16_64 0
		.amdhsa_float_denorm_mode_32 3
		.amdhsa_float_denorm_mode_16_64 3
		.amdhsa_dx10_clamp 1
		.amdhsa_ieee_mode 1
		.amdhsa_fp16_overflow 0
		.amdhsa_exception_fp_ieee_invalid_op 0
		.amdhsa_exception_fp_denorm_src 0
		.amdhsa_exception_fp_ieee_div_zero 0
		.amdhsa_exception_fp_ieee_overflow 0
		.amdhsa_exception_fp_ieee_underflow 0
		.amdhsa_exception_fp_ieee_inexact 0
		.amdhsa_exception_int_div_zero 0
	.end_amdhsa_kernel
	.section	.text._Z13reduce_kernelILj377ELN6hipcub20BlockReduceAlgorithmE0EjEvPT1_S3_,"axG",@progbits,_Z13reduce_kernelILj377ELN6hipcub20BlockReduceAlgorithmE0EjEvPT1_S3_,comdat
.Lfunc_end27:
	.size	_Z13reduce_kernelILj377ELN6hipcub20BlockReduceAlgorithmE0EjEvPT1_S3_, .Lfunc_end27-_Z13reduce_kernelILj377ELN6hipcub20BlockReduceAlgorithmE0EjEvPT1_S3_
                                        ; -- End function
	.set _Z13reduce_kernelILj377ELN6hipcub20BlockReduceAlgorithmE0EjEvPT1_S3_.num_vgpr, 11
	.set _Z13reduce_kernelILj377ELN6hipcub20BlockReduceAlgorithmE0EjEvPT1_S3_.num_agpr, 0
	.set _Z13reduce_kernelILj377ELN6hipcub20BlockReduceAlgorithmE0EjEvPT1_S3_.numbered_sgpr, 8
	.set _Z13reduce_kernelILj377ELN6hipcub20BlockReduceAlgorithmE0EjEvPT1_S3_.num_named_barrier, 0
	.set _Z13reduce_kernelILj377ELN6hipcub20BlockReduceAlgorithmE0EjEvPT1_S3_.private_seg_size, 0
	.set _Z13reduce_kernelILj377ELN6hipcub20BlockReduceAlgorithmE0EjEvPT1_S3_.uses_vcc, 1
	.set _Z13reduce_kernelILj377ELN6hipcub20BlockReduceAlgorithmE0EjEvPT1_S3_.uses_flat_scratch, 0
	.set _Z13reduce_kernelILj377ELN6hipcub20BlockReduceAlgorithmE0EjEvPT1_S3_.has_dyn_sized_stack, 0
	.set _Z13reduce_kernelILj377ELN6hipcub20BlockReduceAlgorithmE0EjEvPT1_S3_.has_recursion, 0
	.set _Z13reduce_kernelILj377ELN6hipcub20BlockReduceAlgorithmE0EjEvPT1_S3_.has_indirect_call, 0
	.section	.AMDGPU.csdata,"",@progbits
; Kernel info:
; codeLenInByte = 628
; TotalNumSgprs: 12
; NumVgprs: 11
; ScratchSize: 0
; MemoryBound: 0
; FloatMode: 240
; IeeeMode: 1
; LDSByteSize: 24 bytes/workgroup (compile time only)
; SGPRBlocks: 1
; VGPRBlocks: 2
; NumSGPRsForWavesPerEU: 12
; NumVGPRsForWavesPerEU: 11
; Occupancy: 10
; WaveLimiterHint : 0
; COMPUTE_PGM_RSRC2:SCRATCH_EN: 0
; COMPUTE_PGM_RSRC2:USER_SGPR: 6
; COMPUTE_PGM_RSRC2:TRAP_HANDLER: 0
; COMPUTE_PGM_RSRC2:TGID_X_EN: 1
; COMPUTE_PGM_RSRC2:TGID_Y_EN: 0
; COMPUTE_PGM_RSRC2:TGID_Z_EN: 0
; COMPUTE_PGM_RSRC2:TIDIG_COMP_CNT: 0
	.section	.text._Z13reduce_kernelILj256ELN6hipcub20BlockReduceAlgorithmE0EjEvPT1_S3_,"axG",@progbits,_Z13reduce_kernelILj256ELN6hipcub20BlockReduceAlgorithmE0EjEvPT1_S3_,comdat
	.protected	_Z13reduce_kernelILj256ELN6hipcub20BlockReduceAlgorithmE0EjEvPT1_S3_ ; -- Begin function _Z13reduce_kernelILj256ELN6hipcub20BlockReduceAlgorithmE0EjEvPT1_S3_
	.globl	_Z13reduce_kernelILj256ELN6hipcub20BlockReduceAlgorithmE0EjEvPT1_S3_
	.p2align	8
	.type	_Z13reduce_kernelILj256ELN6hipcub20BlockReduceAlgorithmE0EjEvPT1_S3_,@function
_Z13reduce_kernelILj256ELN6hipcub20BlockReduceAlgorithmE0EjEvPT1_S3_: ; @_Z13reduce_kernelILj256ELN6hipcub20BlockReduceAlgorithmE0EjEvPT1_S3_
; %bb.0:
	s_load_dwordx4 s[0:3], s[4:5], 0x0
	v_lshl_or_b32 v1, s6, 8, v0
	v_mov_b32_e32 v2, 0
	v_lshlrev_b64 v[1:2], 2, v[1:2]
	s_waitcnt lgkmcnt(0)
	v_mov_b32_e32 v3, s1
	v_add_co_u32_e32 v1, vcc, s0, v1
	v_addc_co_u32_e32 v2, vcc, v3, v2, vcc
	global_load_dword v3, v[1:2], off
	v_mbcnt_lo_u32_b32 v1, -1, 0
	v_mbcnt_hi_u32_b32 v1, -1, v1
	v_lshlrev_b32_e32 v2, 2, v1
	v_cmp_eq_u32_e32 vcc, 0, v1
	s_waitcnt vmcnt(0)
	v_mov_b32_dpp v4, v3 quad_perm:[1,0,3,2] row_mask:0xf bank_mask:0xf
	v_add_u32_e32 v3, v4, v3
	s_nop 1
	v_mov_b32_dpp v4, v3 quad_perm:[2,3,0,1] row_mask:0xf bank_mask:0xf
	v_add_u32_e32 v3, v3, v4
	s_nop 1
	v_mov_b32_dpp v4, v3 row_ror:4 row_mask:0xf bank_mask:0xf
	v_add_u32_e32 v3, v3, v4
	s_nop 1
	v_mov_b32_dpp v4, v3 row_ror:8 row_mask:0xf bank_mask:0xf
	v_add_u32_e32 v3, v3, v4
	s_nop 1
	v_mov_b32_dpp v4, v3 row_bcast:15 row_mask:0xf bank_mask:0xf
	v_add_u32_e32 v3, v3, v4
	s_nop 1
	v_mov_b32_dpp v4, v3 row_bcast:31 row_mask:0xf bank_mask:0xf
	v_add_u32_e32 v3, v3, v4
	v_or_b32_e32 v4, 0xfc, v2
	ds_bpermute_b32 v3, v4, v3
	s_and_saveexec_b64 s[0:1], vcc
	s_cbranch_execz .LBB28_2
; %bb.1:
	v_lshrrev_b32_e32 v4, 4, v0
	v_and_b32_e32 v4, 12, v4
	s_waitcnt lgkmcnt(0)
	ds_write_b32 v4, v3
.LBB28_2:
	s_or_b64 exec, exec, s[0:1]
	v_cmp_gt_u32_e32 vcc, 64, v0
	s_waitcnt lgkmcnt(0)
	s_barrier
	s_and_saveexec_b64 s[0:1], vcc
	s_cbranch_execz .LBB28_4
; %bb.3:
	v_and_b32_e32 v3, 3, v1
	v_lshlrev_b32_e32 v4, 2, v3
	ds_read_b32 v4, v4
	v_cmp_ne_u32_e32 vcc, 3, v3
	v_addc_co_u32_e32 v1, vcc, 0, v1, vcc
	v_lshlrev_b32_e32 v1, 2, v1
	s_waitcnt lgkmcnt(0)
	ds_bpermute_b32 v1, v1, v4
	v_or_b32_e32 v2, 8, v2
	s_waitcnt lgkmcnt(0)
	v_add_u32_e32 v1, v1, v4
	ds_bpermute_b32 v2, v2, v1
	s_waitcnt lgkmcnt(0)
	v_add_u32_e32 v3, v2, v1
.LBB28_4:
	s_or_b64 exec, exec, s[0:1]
	s_mov_b32 s7, 0
	v_cmp_eq_u32_e32 vcc, 0, v0
	s_and_saveexec_b64 s[0:1], vcc
	s_cbranch_execz .LBB28_6
; %bb.5:
	s_lshl_b64 s[0:1], s[6:7], 2
	s_add_u32 s0, s2, s0
	s_addc_u32 s1, s3, s1
	v_mov_b32_e32 v0, 0
	global_store_dword v0, v3, s[0:1]
.LBB28_6:
	s_endpgm
	.section	.rodata,"a",@progbits
	.p2align	6, 0x0
	.amdhsa_kernel _Z13reduce_kernelILj256ELN6hipcub20BlockReduceAlgorithmE0EjEvPT1_S3_
		.amdhsa_group_segment_fixed_size 16
		.amdhsa_private_segment_fixed_size 0
		.amdhsa_kernarg_size 16
		.amdhsa_user_sgpr_count 6
		.amdhsa_user_sgpr_private_segment_buffer 1
		.amdhsa_user_sgpr_dispatch_ptr 0
		.amdhsa_user_sgpr_queue_ptr 0
		.amdhsa_user_sgpr_kernarg_segment_ptr 1
		.amdhsa_user_sgpr_dispatch_id 0
		.amdhsa_user_sgpr_flat_scratch_init 0
		.amdhsa_user_sgpr_private_segment_size 0
		.amdhsa_uses_dynamic_stack 0
		.amdhsa_system_sgpr_private_segment_wavefront_offset 0
		.amdhsa_system_sgpr_workgroup_id_x 1
		.amdhsa_system_sgpr_workgroup_id_y 0
		.amdhsa_system_sgpr_workgroup_id_z 0
		.amdhsa_system_sgpr_workgroup_info 0
		.amdhsa_system_vgpr_workitem_id 0
		.amdhsa_next_free_vgpr 5
		.amdhsa_next_free_sgpr 8
		.amdhsa_reserve_vcc 1
		.amdhsa_reserve_flat_scratch 0
		.amdhsa_float_round_mode_32 0
		.amdhsa_float_round_mode_16_64 0
		.amdhsa_float_denorm_mode_32 3
		.amdhsa_float_denorm_mode_16_64 3
		.amdhsa_dx10_clamp 1
		.amdhsa_ieee_mode 1
		.amdhsa_fp16_overflow 0
		.amdhsa_exception_fp_ieee_invalid_op 0
		.amdhsa_exception_fp_denorm_src 0
		.amdhsa_exception_fp_ieee_div_zero 0
		.amdhsa_exception_fp_ieee_overflow 0
		.amdhsa_exception_fp_ieee_underflow 0
		.amdhsa_exception_fp_ieee_inexact 0
		.amdhsa_exception_int_div_zero 0
	.end_amdhsa_kernel
	.section	.text._Z13reduce_kernelILj256ELN6hipcub20BlockReduceAlgorithmE0EjEvPT1_S3_,"axG",@progbits,_Z13reduce_kernelILj256ELN6hipcub20BlockReduceAlgorithmE0EjEvPT1_S3_,comdat
.Lfunc_end28:
	.size	_Z13reduce_kernelILj256ELN6hipcub20BlockReduceAlgorithmE0EjEvPT1_S3_, .Lfunc_end28-_Z13reduce_kernelILj256ELN6hipcub20BlockReduceAlgorithmE0EjEvPT1_S3_
                                        ; -- End function
	.set _Z13reduce_kernelILj256ELN6hipcub20BlockReduceAlgorithmE0EjEvPT1_S3_.num_vgpr, 5
	.set _Z13reduce_kernelILj256ELN6hipcub20BlockReduceAlgorithmE0EjEvPT1_S3_.num_agpr, 0
	.set _Z13reduce_kernelILj256ELN6hipcub20BlockReduceAlgorithmE0EjEvPT1_S3_.numbered_sgpr, 8
	.set _Z13reduce_kernelILj256ELN6hipcub20BlockReduceAlgorithmE0EjEvPT1_S3_.num_named_barrier, 0
	.set _Z13reduce_kernelILj256ELN6hipcub20BlockReduceAlgorithmE0EjEvPT1_S3_.private_seg_size, 0
	.set _Z13reduce_kernelILj256ELN6hipcub20BlockReduceAlgorithmE0EjEvPT1_S3_.uses_vcc, 1
	.set _Z13reduce_kernelILj256ELN6hipcub20BlockReduceAlgorithmE0EjEvPT1_S3_.uses_flat_scratch, 0
	.set _Z13reduce_kernelILj256ELN6hipcub20BlockReduceAlgorithmE0EjEvPT1_S3_.has_dyn_sized_stack, 0
	.set _Z13reduce_kernelILj256ELN6hipcub20BlockReduceAlgorithmE0EjEvPT1_S3_.has_recursion, 0
	.set _Z13reduce_kernelILj256ELN6hipcub20BlockReduceAlgorithmE0EjEvPT1_S3_.has_indirect_call, 0
	.section	.AMDGPU.csdata,"",@progbits
; Kernel info:
; codeLenInByte = 356
; TotalNumSgprs: 12
; NumVgprs: 5
; ScratchSize: 0
; MemoryBound: 0
; FloatMode: 240
; IeeeMode: 1
; LDSByteSize: 16 bytes/workgroup (compile time only)
; SGPRBlocks: 1
; VGPRBlocks: 1
; NumSGPRsForWavesPerEU: 12
; NumVGPRsForWavesPerEU: 5
; Occupancy: 10
; WaveLimiterHint : 0
; COMPUTE_PGM_RSRC2:SCRATCH_EN: 0
; COMPUTE_PGM_RSRC2:USER_SGPR: 6
; COMPUTE_PGM_RSRC2:TRAP_HANDLER: 0
; COMPUTE_PGM_RSRC2:TGID_X_EN: 1
; COMPUTE_PGM_RSRC2:TGID_Y_EN: 0
; COMPUTE_PGM_RSRC2:TGID_Z_EN: 0
; COMPUTE_PGM_RSRC2:TIDIG_COMP_CNT: 0
	.section	.text._Z13reduce_kernelILj64ELN6hipcub20BlockReduceAlgorithmE0EjEvPT1_S3_,"axG",@progbits,_Z13reduce_kernelILj64ELN6hipcub20BlockReduceAlgorithmE0EjEvPT1_S3_,comdat
	.protected	_Z13reduce_kernelILj64ELN6hipcub20BlockReduceAlgorithmE0EjEvPT1_S3_ ; -- Begin function _Z13reduce_kernelILj64ELN6hipcub20BlockReduceAlgorithmE0EjEvPT1_S3_
	.globl	_Z13reduce_kernelILj64ELN6hipcub20BlockReduceAlgorithmE0EjEvPT1_S3_
	.p2align	8
	.type	_Z13reduce_kernelILj64ELN6hipcub20BlockReduceAlgorithmE0EjEvPT1_S3_,@function
_Z13reduce_kernelILj64ELN6hipcub20BlockReduceAlgorithmE0EjEvPT1_S3_: ; @_Z13reduce_kernelILj64ELN6hipcub20BlockReduceAlgorithmE0EjEvPT1_S3_
; %bb.0:
	s_load_dwordx4 s[0:3], s[4:5], 0x0
	v_lshl_or_b32 v1, s6, 6, v0
	v_mov_b32_e32 v2, 0
	v_lshlrev_b64 v[3:4], 2, v[1:2]
	s_mov_b32 s7, 0
	s_waitcnt lgkmcnt(0)
	v_mov_b32_e32 v1, s1
	v_add_co_u32_e32 v3, vcc, s0, v3
	v_addc_co_u32_e32 v4, vcc, v1, v4, vcc
	global_load_dword v1, v[3:4], off
	v_mbcnt_lo_u32_b32 v3, -1, 0
	v_bfrev_b32_e32 v4, 0.5
	v_mbcnt_hi_u32_b32 v3, -1, v3
	v_lshl_or_b32 v3, v3, 2, v4
	v_cmp_eq_u32_e32 vcc, 0, v0
	s_waitcnt vmcnt(0)
	v_mov_b32_dpp v5, v1 quad_perm:[1,0,3,2] row_mask:0xf bank_mask:0xf
	v_add_u32_e32 v1, v5, v1
	s_nop 1
	v_mov_b32_dpp v5, v1 quad_perm:[2,3,0,1] row_mask:0xf bank_mask:0xf
	v_add_u32_e32 v1, v1, v5
	s_nop 1
	v_mov_b32_dpp v5, v1 row_ror:4 row_mask:0xf bank_mask:0xf
	v_add_u32_e32 v1, v1, v5
	s_nop 1
	v_mov_b32_dpp v5, v1 row_ror:8 row_mask:0xf bank_mask:0xf
	v_add_u32_e32 v1, v1, v5
	s_nop 1
	v_mov_b32_dpp v5, v1 row_bcast:15 row_mask:0xf bank_mask:0xf
	v_add_u32_e32 v1, v1, v5
	s_nop 1
	v_mov_b32_dpp v5, v1 row_bcast:31 row_mask:0xf bank_mask:0xf
	v_add_u32_e32 v1, v1, v5
	ds_bpermute_b32 v1, v3, v1
	s_and_saveexec_b64 s[0:1], vcc
	s_cbranch_execz .LBB29_2
; %bb.1:
	s_lshl_b64 s[0:1], s[6:7], 2
	s_add_u32 s0, s2, s0
	s_addc_u32 s1, s3, s1
	s_waitcnt lgkmcnt(0)
	global_store_dword v2, v1, s[0:1]
.LBB29_2:
	s_endpgm
	.section	.rodata,"a",@progbits
	.p2align	6, 0x0
	.amdhsa_kernel _Z13reduce_kernelILj64ELN6hipcub20BlockReduceAlgorithmE0EjEvPT1_S3_
		.amdhsa_group_segment_fixed_size 0
		.amdhsa_private_segment_fixed_size 0
		.amdhsa_kernarg_size 16
		.amdhsa_user_sgpr_count 6
		.amdhsa_user_sgpr_private_segment_buffer 1
		.amdhsa_user_sgpr_dispatch_ptr 0
		.amdhsa_user_sgpr_queue_ptr 0
		.amdhsa_user_sgpr_kernarg_segment_ptr 1
		.amdhsa_user_sgpr_dispatch_id 0
		.amdhsa_user_sgpr_flat_scratch_init 0
		.amdhsa_user_sgpr_private_segment_size 0
		.amdhsa_uses_dynamic_stack 0
		.amdhsa_system_sgpr_private_segment_wavefront_offset 0
		.amdhsa_system_sgpr_workgroup_id_x 1
		.amdhsa_system_sgpr_workgroup_id_y 0
		.amdhsa_system_sgpr_workgroup_id_z 0
		.amdhsa_system_sgpr_workgroup_info 0
		.amdhsa_system_vgpr_workitem_id 0
		.amdhsa_next_free_vgpr 6
		.amdhsa_next_free_sgpr 8
		.amdhsa_reserve_vcc 1
		.amdhsa_reserve_flat_scratch 0
		.amdhsa_float_round_mode_32 0
		.amdhsa_float_round_mode_16_64 0
		.amdhsa_float_denorm_mode_32 3
		.amdhsa_float_denorm_mode_16_64 3
		.amdhsa_dx10_clamp 1
		.amdhsa_ieee_mode 1
		.amdhsa_fp16_overflow 0
		.amdhsa_exception_fp_ieee_invalid_op 0
		.amdhsa_exception_fp_denorm_src 0
		.amdhsa_exception_fp_ieee_div_zero 0
		.amdhsa_exception_fp_ieee_overflow 0
		.amdhsa_exception_fp_ieee_underflow 0
		.amdhsa_exception_fp_ieee_inexact 0
		.amdhsa_exception_int_div_zero 0
	.end_amdhsa_kernel
	.section	.text._Z13reduce_kernelILj64ELN6hipcub20BlockReduceAlgorithmE0EjEvPT1_S3_,"axG",@progbits,_Z13reduce_kernelILj64ELN6hipcub20BlockReduceAlgorithmE0EjEvPT1_S3_,comdat
.Lfunc_end29:
	.size	_Z13reduce_kernelILj64ELN6hipcub20BlockReduceAlgorithmE0EjEvPT1_S3_, .Lfunc_end29-_Z13reduce_kernelILj64ELN6hipcub20BlockReduceAlgorithmE0EjEvPT1_S3_
                                        ; -- End function
	.set _Z13reduce_kernelILj64ELN6hipcub20BlockReduceAlgorithmE0EjEvPT1_S3_.num_vgpr, 6
	.set _Z13reduce_kernelILj64ELN6hipcub20BlockReduceAlgorithmE0EjEvPT1_S3_.num_agpr, 0
	.set _Z13reduce_kernelILj64ELN6hipcub20BlockReduceAlgorithmE0EjEvPT1_S3_.numbered_sgpr, 8
	.set _Z13reduce_kernelILj64ELN6hipcub20BlockReduceAlgorithmE0EjEvPT1_S3_.num_named_barrier, 0
	.set _Z13reduce_kernelILj64ELN6hipcub20BlockReduceAlgorithmE0EjEvPT1_S3_.private_seg_size, 0
	.set _Z13reduce_kernelILj64ELN6hipcub20BlockReduceAlgorithmE0EjEvPT1_S3_.uses_vcc, 1
	.set _Z13reduce_kernelILj64ELN6hipcub20BlockReduceAlgorithmE0EjEvPT1_S3_.uses_flat_scratch, 0
	.set _Z13reduce_kernelILj64ELN6hipcub20BlockReduceAlgorithmE0EjEvPT1_S3_.has_dyn_sized_stack, 0
	.set _Z13reduce_kernelILj64ELN6hipcub20BlockReduceAlgorithmE0EjEvPT1_S3_.has_recursion, 0
	.set _Z13reduce_kernelILj64ELN6hipcub20BlockReduceAlgorithmE0EjEvPT1_S3_.has_indirect_call, 0
	.section	.AMDGPU.csdata,"",@progbits
; Kernel info:
; codeLenInByte = 228
; TotalNumSgprs: 12
; NumVgprs: 6
; ScratchSize: 0
; MemoryBound: 0
; FloatMode: 240
; IeeeMode: 1
; LDSByteSize: 0 bytes/workgroup (compile time only)
; SGPRBlocks: 1
; VGPRBlocks: 1
; NumSGPRsForWavesPerEU: 12
; NumVGPRsForWavesPerEU: 6
; Occupancy: 10
; WaveLimiterHint : 0
; COMPUTE_PGM_RSRC2:SCRATCH_EN: 0
; COMPUTE_PGM_RSRC2:USER_SGPR: 6
; COMPUTE_PGM_RSRC2:TRAP_HANDLER: 0
; COMPUTE_PGM_RSRC2:TGID_X_EN: 1
; COMPUTE_PGM_RSRC2:TGID_Y_EN: 0
; COMPUTE_PGM_RSRC2:TGID_Z_EN: 0
; COMPUTE_PGM_RSRC2:TIDIG_COMP_CNT: 0
	.section	.text._Z13reduce_kernelILj255ELN6hipcub20BlockReduceAlgorithmE0EiEvPT1_S3_,"axG",@progbits,_Z13reduce_kernelILj255ELN6hipcub20BlockReduceAlgorithmE0EiEvPT1_S3_,comdat
	.protected	_Z13reduce_kernelILj255ELN6hipcub20BlockReduceAlgorithmE0EiEvPT1_S3_ ; -- Begin function _Z13reduce_kernelILj255ELN6hipcub20BlockReduceAlgorithmE0EiEvPT1_S3_
	.globl	_Z13reduce_kernelILj255ELN6hipcub20BlockReduceAlgorithmE0EiEvPT1_S3_
	.p2align	8
	.type	_Z13reduce_kernelILj255ELN6hipcub20BlockReduceAlgorithmE0EiEvPT1_S3_,@function
_Z13reduce_kernelILj255ELN6hipcub20BlockReduceAlgorithmE0EiEvPT1_S3_: ; @_Z13reduce_kernelILj255ELN6hipcub20BlockReduceAlgorithmE0EiEvPT1_S3_
; %bb.0:
	s_load_dwordx4 s[0:3], s[4:5], 0x0
	s_mul_i32 s4, s6, 0xff
	v_add_u32_e32 v1, s4, v0
	v_mov_b32_e32 v2, 0
	v_lshlrev_b64 v[1:2], 2, v[1:2]
	s_waitcnt lgkmcnt(0)
	v_mov_b32_e32 v3, s1
	v_add_co_u32_e32 v1, vcc, s0, v1
	v_addc_co_u32_e32 v2, vcc, v3, v2, vcc
	global_load_dword v2, v[1:2], off
	v_mbcnt_lo_u32_b32 v1, -1, 0
	s_movk_i32 s0, 0x100
	v_mbcnt_hi_u32_b32 v1, -1, v1
	v_and_b32_e32 v3, 0xc0, v0
	v_xor_b32_e32 v3, 0xff, v3
	v_and_b32_e32 v4, 63, v1
	v_cmp_gt_u32_e32 vcc, s0, v0
	v_cndmask_b32_e32 v9, 0, v3, vcc
	v_cmp_ne_u32_e32 vcc, 63, v4
	v_addc_co_u32_e32 v3, vcc, 0, v1, vcc
	v_lshlrev_b32_e32 v3, 2, v3
	v_add_u32_e32 v5, 1, v1
	v_cmp_gt_u32_e32 vcc, 62, v4
	v_cndmask_b32_e64 v10, 0, 2, vcc
	v_cmp_lt_u32_e32 vcc, v5, v9
	v_add_lshl_u32 v10, v10, v1, 2
	v_add_u32_e32 v6, 2, v1
	v_add_u32_e32 v7, 4, v1
	;; [unrolled: 1-line block ×3, first 2 shown]
	s_waitcnt vmcnt(0)
	ds_bpermute_b32 v3, v3, v2
	s_waitcnt lgkmcnt(0)
	v_cndmask_b32_e32 v3, 0, v3, vcc
	v_add_u32_e32 v2, v3, v2
	ds_bpermute_b32 v3, v10, v2
	v_cmp_gt_u32_e32 vcc, 60, v4
	v_cndmask_b32_e64 v5, 0, 4, vcc
	v_cmp_lt_u32_e32 vcc, v6, v9
	v_add_lshl_u32 v5, v5, v1, 2
	s_waitcnt lgkmcnt(0)
	v_cndmask_b32_e32 v3, 0, v3, vcc
	v_add_u32_e32 v2, v2, v3
	ds_bpermute_b32 v3, v5, v2
	v_cmp_gt_u32_e32 vcc, 56, v4
	v_cndmask_b32_e64 v5, 0, 8, vcc
	v_cmp_lt_u32_e32 vcc, v7, v9
	v_add_lshl_u32 v5, v5, v1, 2
	s_waitcnt lgkmcnt(0)
	v_cndmask_b32_e32 v3, 0, v3, vcc
	v_add_u32_e32 v2, v2, v3
	ds_bpermute_b32 v3, v5, v2
	v_cmp_gt_u32_e32 vcc, 48, v4
	v_cndmask_b32_e64 v4, 0, 16, vcc
	v_cmp_lt_u32_e32 vcc, v8, v9
	v_add_lshl_u32 v4, v4, v1, 2
	s_waitcnt lgkmcnt(0)
	v_cndmask_b32_e32 v3, 0, v3, vcc
	v_add_u32_e32 v2, v2, v3
	ds_bpermute_b32 v4, v4, v2
	v_add_u32_e32 v5, 16, v1
	v_cmp_lt_u32_e32 vcc, v5, v9
	v_lshlrev_b32_e32 v3, 2, v1
	v_or_b32_e32 v6, 0x80, v3
	s_waitcnt lgkmcnt(0)
	v_cndmask_b32_e32 v4, 0, v4, vcc
	v_add_u32_e32 v2, v2, v4
	ds_bpermute_b32 v4, v6, v2
	v_add_u32_e32 v5, 32, v1
	v_cmp_lt_u32_e32 vcc, v5, v9
	s_waitcnt lgkmcnt(0)
	v_cndmask_b32_e32 v4, 0, v4, vcc
	v_add_u32_e32 v2, v2, v4
	v_cmp_eq_u32_e32 vcc, 0, v1
	s_and_saveexec_b64 s[0:1], vcc
; %bb.1:
	v_lshrrev_b32_e32 v4, 4, v0
	v_and_b32_e32 v4, 12, v4
	ds_write_b32 v4, v2
; %bb.2:
	s_or_b64 exec, exec, s[0:1]
	v_cmp_gt_u32_e32 vcc, 64, v0
	s_waitcnt lgkmcnt(0)
	s_barrier
	s_and_saveexec_b64 s[0:1], vcc
	s_cbranch_execz .LBB30_4
; %bb.3:
	v_and_b32_e32 v2, 3, v1
	v_lshlrev_b32_e32 v4, 2, v2
	ds_read_b32 v4, v4
	v_cmp_ne_u32_e32 vcc, 3, v2
	v_addc_co_u32_e32 v1, vcc, 0, v1, vcc
	v_lshlrev_b32_e32 v1, 2, v1
	s_waitcnt lgkmcnt(0)
	ds_bpermute_b32 v1, v1, v4
	v_or_b32_e32 v2, 8, v3
	s_waitcnt lgkmcnt(0)
	v_add_u32_e32 v1, v1, v4
	ds_bpermute_b32 v2, v2, v1
	s_waitcnt lgkmcnt(0)
	v_add_u32_e32 v2, v2, v1
.LBB30_4:
	s_or_b64 exec, exec, s[0:1]
	s_mov_b32 s7, 0
	v_cmp_eq_u32_e32 vcc, 0, v0
	s_and_saveexec_b64 s[0:1], vcc
	s_cbranch_execz .LBB30_6
; %bb.5:
	s_lshl_b64 s[0:1], s[6:7], 2
	s_add_u32 s0, s2, s0
	s_addc_u32 s1, s3, s1
	v_mov_b32_e32 v0, 0
	global_store_dword v0, v2, s[0:1]
.LBB30_6:
	s_endpgm
	.section	.rodata,"a",@progbits
	.p2align	6, 0x0
	.amdhsa_kernel _Z13reduce_kernelILj255ELN6hipcub20BlockReduceAlgorithmE0EiEvPT1_S3_
		.amdhsa_group_segment_fixed_size 16
		.amdhsa_private_segment_fixed_size 0
		.amdhsa_kernarg_size 16
		.amdhsa_user_sgpr_count 6
		.amdhsa_user_sgpr_private_segment_buffer 1
		.amdhsa_user_sgpr_dispatch_ptr 0
		.amdhsa_user_sgpr_queue_ptr 0
		.amdhsa_user_sgpr_kernarg_segment_ptr 1
		.amdhsa_user_sgpr_dispatch_id 0
		.amdhsa_user_sgpr_flat_scratch_init 0
		.amdhsa_user_sgpr_private_segment_size 0
		.amdhsa_uses_dynamic_stack 0
		.amdhsa_system_sgpr_private_segment_wavefront_offset 0
		.amdhsa_system_sgpr_workgroup_id_x 1
		.amdhsa_system_sgpr_workgroup_id_y 0
		.amdhsa_system_sgpr_workgroup_id_z 0
		.amdhsa_system_sgpr_workgroup_info 0
		.amdhsa_system_vgpr_workitem_id 0
		.amdhsa_next_free_vgpr 11
		.amdhsa_next_free_sgpr 8
		.amdhsa_reserve_vcc 1
		.amdhsa_reserve_flat_scratch 0
		.amdhsa_float_round_mode_32 0
		.amdhsa_float_round_mode_16_64 0
		.amdhsa_float_denorm_mode_32 3
		.amdhsa_float_denorm_mode_16_64 3
		.amdhsa_dx10_clamp 1
		.amdhsa_ieee_mode 1
		.amdhsa_fp16_overflow 0
		.amdhsa_exception_fp_ieee_invalid_op 0
		.amdhsa_exception_fp_denorm_src 0
		.amdhsa_exception_fp_ieee_div_zero 0
		.amdhsa_exception_fp_ieee_overflow 0
		.amdhsa_exception_fp_ieee_underflow 0
		.amdhsa_exception_fp_ieee_inexact 0
		.amdhsa_exception_int_div_zero 0
	.end_amdhsa_kernel
	.section	.text._Z13reduce_kernelILj255ELN6hipcub20BlockReduceAlgorithmE0EiEvPT1_S3_,"axG",@progbits,_Z13reduce_kernelILj255ELN6hipcub20BlockReduceAlgorithmE0EiEvPT1_S3_,comdat
.Lfunc_end30:
	.size	_Z13reduce_kernelILj255ELN6hipcub20BlockReduceAlgorithmE0EiEvPT1_S3_, .Lfunc_end30-_Z13reduce_kernelILj255ELN6hipcub20BlockReduceAlgorithmE0EiEvPT1_S3_
                                        ; -- End function
	.set _Z13reduce_kernelILj255ELN6hipcub20BlockReduceAlgorithmE0EiEvPT1_S3_.num_vgpr, 11
	.set _Z13reduce_kernelILj255ELN6hipcub20BlockReduceAlgorithmE0EiEvPT1_S3_.num_agpr, 0
	.set _Z13reduce_kernelILj255ELN6hipcub20BlockReduceAlgorithmE0EiEvPT1_S3_.numbered_sgpr, 8
	.set _Z13reduce_kernelILj255ELN6hipcub20BlockReduceAlgorithmE0EiEvPT1_S3_.num_named_barrier, 0
	.set _Z13reduce_kernelILj255ELN6hipcub20BlockReduceAlgorithmE0EiEvPT1_S3_.private_seg_size, 0
	.set _Z13reduce_kernelILj255ELN6hipcub20BlockReduceAlgorithmE0EiEvPT1_S3_.uses_vcc, 1
	.set _Z13reduce_kernelILj255ELN6hipcub20BlockReduceAlgorithmE0EiEvPT1_S3_.uses_flat_scratch, 0
	.set _Z13reduce_kernelILj255ELN6hipcub20BlockReduceAlgorithmE0EiEvPT1_S3_.has_dyn_sized_stack, 0
	.set _Z13reduce_kernelILj255ELN6hipcub20BlockReduceAlgorithmE0EiEvPT1_S3_.has_recursion, 0
	.set _Z13reduce_kernelILj255ELN6hipcub20BlockReduceAlgorithmE0EiEvPT1_S3_.has_indirect_call, 0
	.section	.AMDGPU.csdata,"",@progbits
; Kernel info:
; codeLenInByte = 544
; TotalNumSgprs: 12
; NumVgprs: 11
; ScratchSize: 0
; MemoryBound: 0
; FloatMode: 240
; IeeeMode: 1
; LDSByteSize: 16 bytes/workgroup (compile time only)
; SGPRBlocks: 1
; VGPRBlocks: 2
; NumSGPRsForWavesPerEU: 12
; NumVGPRsForWavesPerEU: 11
; Occupancy: 10
; WaveLimiterHint : 0
; COMPUTE_PGM_RSRC2:SCRATCH_EN: 0
; COMPUTE_PGM_RSRC2:USER_SGPR: 6
; COMPUTE_PGM_RSRC2:TRAP_HANDLER: 0
; COMPUTE_PGM_RSRC2:TGID_X_EN: 1
; COMPUTE_PGM_RSRC2:TGID_Y_EN: 0
; COMPUTE_PGM_RSRC2:TGID_Z_EN: 0
; COMPUTE_PGM_RSRC2:TIDIG_COMP_CNT: 0
	.section	.text._Z13reduce_kernelILj162ELN6hipcub20BlockReduceAlgorithmE0EiEvPT1_S3_,"axG",@progbits,_Z13reduce_kernelILj162ELN6hipcub20BlockReduceAlgorithmE0EiEvPT1_S3_,comdat
	.protected	_Z13reduce_kernelILj162ELN6hipcub20BlockReduceAlgorithmE0EiEvPT1_S3_ ; -- Begin function _Z13reduce_kernelILj162ELN6hipcub20BlockReduceAlgorithmE0EiEvPT1_S3_
	.globl	_Z13reduce_kernelILj162ELN6hipcub20BlockReduceAlgorithmE0EiEvPT1_S3_
	.p2align	8
	.type	_Z13reduce_kernelILj162ELN6hipcub20BlockReduceAlgorithmE0EiEvPT1_S3_,@function
_Z13reduce_kernelILj162ELN6hipcub20BlockReduceAlgorithmE0EiEvPT1_S3_: ; @_Z13reduce_kernelILj162ELN6hipcub20BlockReduceAlgorithmE0EiEvPT1_S3_
; %bb.0:
	s_load_dwordx4 s[0:3], s[4:5], 0x0
	s_mul_i32 s4, s6, 0xa2
	v_add_u32_e32 v1, s4, v0
	v_mov_b32_e32 v2, 0
	v_lshlrev_b64 v[1:2], 2, v[1:2]
	s_waitcnt lgkmcnt(0)
	v_mov_b32_e32 v3, s1
	v_add_co_u32_e32 v1, vcc, s0, v1
	v_addc_co_u32_e32 v2, vcc, v3, v2, vcc
	global_load_dword v2, v[1:2], off
	v_mbcnt_lo_u32_b32 v1, -1, 0
	s_movk_i32 s0, 0xc0
	v_mbcnt_hi_u32_b32 v1, -1, v1
	v_and_b32_e32 v3, 0xc0, v0
	v_sub_u32_e32 v3, 0xa2, v3
	v_and_b32_e32 v4, 63, v1
	v_cmp_gt_u32_e32 vcc, s0, v0
	v_cndmask_b32_e32 v3, 0, v3, vcc
	v_cmp_ne_u32_e32 vcc, 63, v4
	v_addc_co_u32_e32 v9, vcc, 0, v1, vcc
	v_lshlrev_b32_e32 v9, 2, v9
	v_add_u32_e32 v5, 1, v1
	v_cmp_gt_u32_e32 vcc, 62, v4
	v_cndmask_b32_e64 v10, 0, 2, vcc
	v_cmp_lt_u32_e32 vcc, v5, v3
	v_add_lshl_u32 v10, v10, v1, 2
	v_add_u32_e32 v6, 2, v1
	v_add_u32_e32 v7, 4, v1
	;; [unrolled: 1-line block ×3, first 2 shown]
	s_waitcnt vmcnt(0)
	ds_bpermute_b32 v9, v9, v2
	s_waitcnt lgkmcnt(0)
	v_cndmask_b32_e32 v5, 0, v9, vcc
	v_add_u32_e32 v2, v5, v2
	ds_bpermute_b32 v5, v10, v2
	v_cmp_gt_u32_e32 vcc, 60, v4
	v_cndmask_b32_e64 v9, 0, 4, vcc
	v_cmp_lt_u32_e32 vcc, v6, v3
	v_add_lshl_u32 v9, v9, v1, 2
	s_waitcnt lgkmcnt(0)
	v_cndmask_b32_e32 v5, 0, v5, vcc
	v_add_u32_e32 v2, v2, v5
	ds_bpermute_b32 v5, v9, v2
	v_cmp_gt_u32_e32 vcc, 56, v4
	v_cndmask_b32_e64 v6, 0, 8, vcc
	v_cmp_lt_u32_e32 vcc, v7, v3
	v_add_lshl_u32 v6, v6, v1, 2
	;; [unrolled: 8-line block ×3, first 2 shown]
	s_waitcnt lgkmcnt(0)
	v_cndmask_b32_e32 v5, 0, v5, vcc
	v_add_u32_e32 v5, v2, v5
	ds_bpermute_b32 v4, v4, v5
	v_add_u32_e32 v6, 16, v1
	v_cmp_lt_u32_e32 vcc, v6, v3
	v_lshlrev_b32_e32 v2, 2, v1
	v_or_b32_e32 v7, 0x80, v2
	s_waitcnt lgkmcnt(0)
	v_cndmask_b32_e32 v4, 0, v4, vcc
	v_add_u32_e32 v4, v5, v4
	ds_bpermute_b32 v5, v7, v4
	v_add_u32_e32 v6, 32, v1
	v_cmp_lt_u32_e32 vcc, v6, v3
	s_waitcnt lgkmcnt(0)
	v_cndmask_b32_e32 v3, 0, v5, vcc
	v_add_u32_e32 v3, v4, v3
	v_cmp_eq_u32_e32 vcc, 0, v1
	s_and_saveexec_b64 s[0:1], vcc
; %bb.1:
	v_lshrrev_b32_e32 v4, 4, v0
	v_and_b32_e32 v4, 12, v4
	ds_write_b32 v4, v3
; %bb.2:
	s_or_b64 exec, exec, s[0:1]
	v_cmp_gt_u32_e32 vcc, 64, v0
	s_waitcnt lgkmcnt(0)
	s_barrier
	s_and_saveexec_b64 s[0:1], vcc
	s_cbranch_execz .LBB31_4
; %bb.3:
	s_mov_b32 s4, 0x55555556
	v_mul_hi_u32 v3, v1, s4
	v_and_b32_e32 v4, 3, v1
	v_cmp_ne_u32_e32 vcc, 3, v4
	v_or_b32_e32 v2, 8, v2
	v_mul_u32_u24_e32 v3, 3, v3
	v_sub_u32_e32 v3, v1, v3
	v_lshlrev_b32_e32 v3, 2, v3
	ds_read_b32 v3, v3
	v_addc_co_u32_e32 v1, vcc, 0, v1, vcc
	v_lshlrev_b32_e32 v1, 2, v1
	v_cmp_gt_u32_e32 vcc, 2, v4
	s_waitcnt lgkmcnt(0)
	ds_bpermute_b32 v1, v1, v3
	s_waitcnt lgkmcnt(0)
	v_cndmask_b32_e32 v1, 0, v1, vcc
	v_add_u32_e32 v1, v1, v3
	ds_bpermute_b32 v2, v2, v1
	v_cmp_eq_u32_e32 vcc, 0, v4
	s_waitcnt lgkmcnt(0)
	v_cndmask_b32_e32 v2, 0, v2, vcc
	v_add_u32_e32 v3, v1, v2
.LBB31_4:
	s_or_b64 exec, exec, s[0:1]
	s_mov_b32 s7, 0
	v_cmp_eq_u32_e32 vcc, 0, v0
	s_and_saveexec_b64 s[0:1], vcc
	s_cbranch_execz .LBB31_6
; %bb.5:
	s_lshl_b64 s[0:1], s[6:7], 2
	s_add_u32 s0, s2, s0
	s_addc_u32 s1, s3, s1
	v_mov_b32_e32 v0, 0
	global_store_dword v0, v3, s[0:1]
.LBB31_6:
	s_endpgm
	.section	.rodata,"a",@progbits
	.p2align	6, 0x0
	.amdhsa_kernel _Z13reduce_kernelILj162ELN6hipcub20BlockReduceAlgorithmE0EiEvPT1_S3_
		.amdhsa_group_segment_fixed_size 12
		.amdhsa_private_segment_fixed_size 0
		.amdhsa_kernarg_size 16
		.amdhsa_user_sgpr_count 6
		.amdhsa_user_sgpr_private_segment_buffer 1
		.amdhsa_user_sgpr_dispatch_ptr 0
		.amdhsa_user_sgpr_queue_ptr 0
		.amdhsa_user_sgpr_kernarg_segment_ptr 1
		.amdhsa_user_sgpr_dispatch_id 0
		.amdhsa_user_sgpr_flat_scratch_init 0
		.amdhsa_user_sgpr_private_segment_size 0
		.amdhsa_uses_dynamic_stack 0
		.amdhsa_system_sgpr_private_segment_wavefront_offset 0
		.amdhsa_system_sgpr_workgroup_id_x 1
		.amdhsa_system_sgpr_workgroup_id_y 0
		.amdhsa_system_sgpr_workgroup_id_z 0
		.amdhsa_system_sgpr_workgroup_info 0
		.amdhsa_system_vgpr_workitem_id 0
		.amdhsa_next_free_vgpr 11
		.amdhsa_next_free_sgpr 8
		.amdhsa_reserve_vcc 1
		.amdhsa_reserve_flat_scratch 0
		.amdhsa_float_round_mode_32 0
		.amdhsa_float_round_mode_16_64 0
		.amdhsa_float_denorm_mode_32 3
		.amdhsa_float_denorm_mode_16_64 3
		.amdhsa_dx10_clamp 1
		.amdhsa_ieee_mode 1
		.amdhsa_fp16_overflow 0
		.amdhsa_exception_fp_ieee_invalid_op 0
		.amdhsa_exception_fp_denorm_src 0
		.amdhsa_exception_fp_ieee_div_zero 0
		.amdhsa_exception_fp_ieee_overflow 0
		.amdhsa_exception_fp_ieee_underflow 0
		.amdhsa_exception_fp_ieee_inexact 0
		.amdhsa_exception_int_div_zero 0
	.end_amdhsa_kernel
	.section	.text._Z13reduce_kernelILj162ELN6hipcub20BlockReduceAlgorithmE0EiEvPT1_S3_,"axG",@progbits,_Z13reduce_kernelILj162ELN6hipcub20BlockReduceAlgorithmE0EiEvPT1_S3_,comdat
.Lfunc_end31:
	.size	_Z13reduce_kernelILj162ELN6hipcub20BlockReduceAlgorithmE0EiEvPT1_S3_, .Lfunc_end31-_Z13reduce_kernelILj162ELN6hipcub20BlockReduceAlgorithmE0EiEvPT1_S3_
                                        ; -- End function
	.set _Z13reduce_kernelILj162ELN6hipcub20BlockReduceAlgorithmE0EiEvPT1_S3_.num_vgpr, 11
	.set _Z13reduce_kernelILj162ELN6hipcub20BlockReduceAlgorithmE0EiEvPT1_S3_.num_agpr, 0
	.set _Z13reduce_kernelILj162ELN6hipcub20BlockReduceAlgorithmE0EiEvPT1_S3_.numbered_sgpr, 8
	.set _Z13reduce_kernelILj162ELN6hipcub20BlockReduceAlgorithmE0EiEvPT1_S3_.num_named_barrier, 0
	.set _Z13reduce_kernelILj162ELN6hipcub20BlockReduceAlgorithmE0EiEvPT1_S3_.private_seg_size, 0
	.set _Z13reduce_kernelILj162ELN6hipcub20BlockReduceAlgorithmE0EiEvPT1_S3_.uses_vcc, 1
	.set _Z13reduce_kernelILj162ELN6hipcub20BlockReduceAlgorithmE0EiEvPT1_S3_.uses_flat_scratch, 0
	.set _Z13reduce_kernelILj162ELN6hipcub20BlockReduceAlgorithmE0EiEvPT1_S3_.has_dyn_sized_stack, 0
	.set _Z13reduce_kernelILj162ELN6hipcub20BlockReduceAlgorithmE0EiEvPT1_S3_.has_recursion, 0
	.set _Z13reduce_kernelILj162ELN6hipcub20BlockReduceAlgorithmE0EiEvPT1_S3_.has_indirect_call, 0
	.section	.AMDGPU.csdata,"",@progbits
; Kernel info:
; codeLenInByte = 584
; TotalNumSgprs: 12
; NumVgprs: 11
; ScratchSize: 0
; MemoryBound: 0
; FloatMode: 240
; IeeeMode: 1
; LDSByteSize: 12 bytes/workgroup (compile time only)
; SGPRBlocks: 1
; VGPRBlocks: 2
; NumSGPRsForWavesPerEU: 12
; NumVGPRsForWavesPerEU: 11
; Occupancy: 10
; WaveLimiterHint : 0
; COMPUTE_PGM_RSRC2:SCRATCH_EN: 0
; COMPUTE_PGM_RSRC2:USER_SGPR: 6
; COMPUTE_PGM_RSRC2:TRAP_HANDLER: 0
; COMPUTE_PGM_RSRC2:TGID_X_EN: 1
; COMPUTE_PGM_RSRC2:TGID_Y_EN: 0
; COMPUTE_PGM_RSRC2:TGID_Z_EN: 0
; COMPUTE_PGM_RSRC2:TIDIG_COMP_CNT: 0
	.section	.text._Z13reduce_kernelILj129ELN6hipcub20BlockReduceAlgorithmE0EiEvPT1_S3_,"axG",@progbits,_Z13reduce_kernelILj129ELN6hipcub20BlockReduceAlgorithmE0EiEvPT1_S3_,comdat
	.protected	_Z13reduce_kernelILj129ELN6hipcub20BlockReduceAlgorithmE0EiEvPT1_S3_ ; -- Begin function _Z13reduce_kernelILj129ELN6hipcub20BlockReduceAlgorithmE0EiEvPT1_S3_
	.globl	_Z13reduce_kernelILj129ELN6hipcub20BlockReduceAlgorithmE0EiEvPT1_S3_
	.p2align	8
	.type	_Z13reduce_kernelILj129ELN6hipcub20BlockReduceAlgorithmE0EiEvPT1_S3_,@function
_Z13reduce_kernelILj129ELN6hipcub20BlockReduceAlgorithmE0EiEvPT1_S3_: ; @_Z13reduce_kernelILj129ELN6hipcub20BlockReduceAlgorithmE0EiEvPT1_S3_
; %bb.0:
	s_load_dwordx4 s[0:3], s[4:5], 0x0
	s_mul_i32 s4, s6, 0x81
	v_add_u32_e32 v1, s4, v0
	v_mov_b32_e32 v2, 0
	v_lshlrev_b64 v[1:2], 2, v[1:2]
	s_waitcnt lgkmcnt(0)
	v_mov_b32_e32 v3, s1
	v_add_co_u32_e32 v1, vcc, s0, v1
	v_addc_co_u32_e32 v2, vcc, v3, v2, vcc
	global_load_dword v2, v[1:2], off
	v_mbcnt_lo_u32_b32 v1, -1, 0
	s_movk_i32 s0, 0xc0
	v_mbcnt_hi_u32_b32 v1, -1, v1
	v_and_b32_e32 v3, 0xc0, v0
	v_sub_u32_e32 v3, 0x81, v3
	v_and_b32_e32 v4, 63, v1
	v_cmp_gt_u32_e32 vcc, s0, v0
	v_cndmask_b32_e32 v3, 0, v3, vcc
	v_cmp_ne_u32_e32 vcc, 63, v4
	v_addc_co_u32_e32 v9, vcc, 0, v1, vcc
	v_lshlrev_b32_e32 v9, 2, v9
	v_add_u32_e32 v5, 1, v1
	v_cmp_gt_u32_e32 vcc, 62, v4
	v_cndmask_b32_e64 v10, 0, 2, vcc
	v_cmp_lt_u32_e32 vcc, v5, v3
	v_add_lshl_u32 v10, v10, v1, 2
	v_add_u32_e32 v6, 2, v1
	v_add_u32_e32 v7, 4, v1
	v_add_u32_e32 v8, 8, v1
	s_waitcnt vmcnt(0)
	ds_bpermute_b32 v9, v9, v2
	s_waitcnt lgkmcnt(0)
	v_cndmask_b32_e32 v5, 0, v9, vcc
	v_add_u32_e32 v2, v5, v2
	ds_bpermute_b32 v5, v10, v2
	v_cmp_gt_u32_e32 vcc, 60, v4
	v_cndmask_b32_e64 v9, 0, 4, vcc
	v_cmp_lt_u32_e32 vcc, v6, v3
	v_add_lshl_u32 v9, v9, v1, 2
	s_waitcnt lgkmcnt(0)
	v_cndmask_b32_e32 v5, 0, v5, vcc
	v_add_u32_e32 v2, v2, v5
	ds_bpermute_b32 v5, v9, v2
	v_cmp_gt_u32_e32 vcc, 56, v4
	v_cndmask_b32_e64 v6, 0, 8, vcc
	v_cmp_lt_u32_e32 vcc, v7, v3
	v_add_lshl_u32 v6, v6, v1, 2
	;; [unrolled: 8-line block ×3, first 2 shown]
	s_waitcnt lgkmcnt(0)
	v_cndmask_b32_e32 v5, 0, v5, vcc
	v_add_u32_e32 v5, v2, v5
	ds_bpermute_b32 v4, v4, v5
	v_add_u32_e32 v6, 16, v1
	v_cmp_lt_u32_e32 vcc, v6, v3
	v_lshlrev_b32_e32 v2, 2, v1
	v_or_b32_e32 v7, 0x80, v2
	s_waitcnt lgkmcnt(0)
	v_cndmask_b32_e32 v4, 0, v4, vcc
	v_add_u32_e32 v4, v5, v4
	ds_bpermute_b32 v5, v7, v4
	v_add_u32_e32 v6, 32, v1
	v_cmp_lt_u32_e32 vcc, v6, v3
	s_waitcnt lgkmcnt(0)
	v_cndmask_b32_e32 v3, 0, v5, vcc
	v_add_u32_e32 v3, v4, v3
	v_cmp_eq_u32_e32 vcc, 0, v1
	s_and_saveexec_b64 s[0:1], vcc
; %bb.1:
	v_lshrrev_b32_e32 v4, 4, v0
	v_and_b32_e32 v4, 12, v4
	ds_write_b32 v4, v3
; %bb.2:
	s_or_b64 exec, exec, s[0:1]
	v_cmp_gt_u32_e32 vcc, 64, v0
	s_waitcnt lgkmcnt(0)
	s_barrier
	s_and_saveexec_b64 s[0:1], vcc
	s_cbranch_execz .LBB32_4
; %bb.3:
	s_mov_b32 s4, 0x55555556
	v_mul_hi_u32 v3, v1, s4
	v_and_b32_e32 v4, 3, v1
	v_cmp_ne_u32_e32 vcc, 3, v4
	v_or_b32_e32 v2, 8, v2
	v_mul_u32_u24_e32 v3, 3, v3
	v_sub_u32_e32 v3, v1, v3
	v_lshlrev_b32_e32 v3, 2, v3
	ds_read_b32 v3, v3
	v_addc_co_u32_e32 v1, vcc, 0, v1, vcc
	v_lshlrev_b32_e32 v1, 2, v1
	v_cmp_gt_u32_e32 vcc, 2, v4
	s_waitcnt lgkmcnt(0)
	ds_bpermute_b32 v1, v1, v3
	s_waitcnt lgkmcnt(0)
	v_cndmask_b32_e32 v1, 0, v1, vcc
	v_add_u32_e32 v1, v1, v3
	ds_bpermute_b32 v2, v2, v1
	v_cmp_eq_u32_e32 vcc, 0, v4
	s_waitcnt lgkmcnt(0)
	v_cndmask_b32_e32 v2, 0, v2, vcc
	v_add_u32_e32 v3, v1, v2
.LBB32_4:
	s_or_b64 exec, exec, s[0:1]
	s_mov_b32 s7, 0
	v_cmp_eq_u32_e32 vcc, 0, v0
	s_and_saveexec_b64 s[0:1], vcc
	s_cbranch_execz .LBB32_6
; %bb.5:
	s_lshl_b64 s[0:1], s[6:7], 2
	s_add_u32 s0, s2, s0
	s_addc_u32 s1, s3, s1
	v_mov_b32_e32 v0, 0
	global_store_dword v0, v3, s[0:1]
.LBB32_6:
	s_endpgm
	.section	.rodata,"a",@progbits
	.p2align	6, 0x0
	.amdhsa_kernel _Z13reduce_kernelILj129ELN6hipcub20BlockReduceAlgorithmE0EiEvPT1_S3_
		.amdhsa_group_segment_fixed_size 12
		.amdhsa_private_segment_fixed_size 0
		.amdhsa_kernarg_size 16
		.amdhsa_user_sgpr_count 6
		.amdhsa_user_sgpr_private_segment_buffer 1
		.amdhsa_user_sgpr_dispatch_ptr 0
		.amdhsa_user_sgpr_queue_ptr 0
		.amdhsa_user_sgpr_kernarg_segment_ptr 1
		.amdhsa_user_sgpr_dispatch_id 0
		.amdhsa_user_sgpr_flat_scratch_init 0
		.amdhsa_user_sgpr_private_segment_size 0
		.amdhsa_uses_dynamic_stack 0
		.amdhsa_system_sgpr_private_segment_wavefront_offset 0
		.amdhsa_system_sgpr_workgroup_id_x 1
		.amdhsa_system_sgpr_workgroup_id_y 0
		.amdhsa_system_sgpr_workgroup_id_z 0
		.amdhsa_system_sgpr_workgroup_info 0
		.amdhsa_system_vgpr_workitem_id 0
		.amdhsa_next_free_vgpr 11
		.amdhsa_next_free_sgpr 8
		.amdhsa_reserve_vcc 1
		.amdhsa_reserve_flat_scratch 0
		.amdhsa_float_round_mode_32 0
		.amdhsa_float_round_mode_16_64 0
		.amdhsa_float_denorm_mode_32 3
		.amdhsa_float_denorm_mode_16_64 3
		.amdhsa_dx10_clamp 1
		.amdhsa_ieee_mode 1
		.amdhsa_fp16_overflow 0
		.amdhsa_exception_fp_ieee_invalid_op 0
		.amdhsa_exception_fp_denorm_src 0
		.amdhsa_exception_fp_ieee_div_zero 0
		.amdhsa_exception_fp_ieee_overflow 0
		.amdhsa_exception_fp_ieee_underflow 0
		.amdhsa_exception_fp_ieee_inexact 0
		.amdhsa_exception_int_div_zero 0
	.end_amdhsa_kernel
	.section	.text._Z13reduce_kernelILj129ELN6hipcub20BlockReduceAlgorithmE0EiEvPT1_S3_,"axG",@progbits,_Z13reduce_kernelILj129ELN6hipcub20BlockReduceAlgorithmE0EiEvPT1_S3_,comdat
.Lfunc_end32:
	.size	_Z13reduce_kernelILj129ELN6hipcub20BlockReduceAlgorithmE0EiEvPT1_S3_, .Lfunc_end32-_Z13reduce_kernelILj129ELN6hipcub20BlockReduceAlgorithmE0EiEvPT1_S3_
                                        ; -- End function
	.set _Z13reduce_kernelILj129ELN6hipcub20BlockReduceAlgorithmE0EiEvPT1_S3_.num_vgpr, 11
	.set _Z13reduce_kernelILj129ELN6hipcub20BlockReduceAlgorithmE0EiEvPT1_S3_.num_agpr, 0
	.set _Z13reduce_kernelILj129ELN6hipcub20BlockReduceAlgorithmE0EiEvPT1_S3_.numbered_sgpr, 8
	.set _Z13reduce_kernelILj129ELN6hipcub20BlockReduceAlgorithmE0EiEvPT1_S3_.num_named_barrier, 0
	.set _Z13reduce_kernelILj129ELN6hipcub20BlockReduceAlgorithmE0EiEvPT1_S3_.private_seg_size, 0
	.set _Z13reduce_kernelILj129ELN6hipcub20BlockReduceAlgorithmE0EiEvPT1_S3_.uses_vcc, 1
	.set _Z13reduce_kernelILj129ELN6hipcub20BlockReduceAlgorithmE0EiEvPT1_S3_.uses_flat_scratch, 0
	.set _Z13reduce_kernelILj129ELN6hipcub20BlockReduceAlgorithmE0EiEvPT1_S3_.has_dyn_sized_stack, 0
	.set _Z13reduce_kernelILj129ELN6hipcub20BlockReduceAlgorithmE0EiEvPT1_S3_.has_recursion, 0
	.set _Z13reduce_kernelILj129ELN6hipcub20BlockReduceAlgorithmE0EiEvPT1_S3_.has_indirect_call, 0
	.section	.AMDGPU.csdata,"",@progbits
; Kernel info:
; codeLenInByte = 584
; TotalNumSgprs: 12
; NumVgprs: 11
; ScratchSize: 0
; MemoryBound: 0
; FloatMode: 240
; IeeeMode: 1
; LDSByteSize: 12 bytes/workgroup (compile time only)
; SGPRBlocks: 1
; VGPRBlocks: 2
; NumSGPRsForWavesPerEU: 12
; NumVGPRsForWavesPerEU: 11
; Occupancy: 10
; WaveLimiterHint : 0
; COMPUTE_PGM_RSRC2:SCRATCH_EN: 0
; COMPUTE_PGM_RSRC2:USER_SGPR: 6
; COMPUTE_PGM_RSRC2:TRAP_HANDLER: 0
; COMPUTE_PGM_RSRC2:TGID_X_EN: 1
; COMPUTE_PGM_RSRC2:TGID_Y_EN: 0
; COMPUTE_PGM_RSRC2:TGID_Z_EN: 0
; COMPUTE_PGM_RSRC2:TIDIG_COMP_CNT: 0
	.section	.text._Z13reduce_kernelILj37ELN6hipcub20BlockReduceAlgorithmE0EiEvPT1_S3_,"axG",@progbits,_Z13reduce_kernelILj37ELN6hipcub20BlockReduceAlgorithmE0EiEvPT1_S3_,comdat
	.protected	_Z13reduce_kernelILj37ELN6hipcub20BlockReduceAlgorithmE0EiEvPT1_S3_ ; -- Begin function _Z13reduce_kernelILj37ELN6hipcub20BlockReduceAlgorithmE0EiEvPT1_S3_
	.globl	_Z13reduce_kernelILj37ELN6hipcub20BlockReduceAlgorithmE0EiEvPT1_S3_
	.p2align	8
	.type	_Z13reduce_kernelILj37ELN6hipcub20BlockReduceAlgorithmE0EiEvPT1_S3_,@function
_Z13reduce_kernelILj37ELN6hipcub20BlockReduceAlgorithmE0EiEvPT1_S3_: ; @_Z13reduce_kernelILj37ELN6hipcub20BlockReduceAlgorithmE0EiEvPT1_S3_
; %bb.0:
	s_load_dwordx4 s[0:3], s[4:5], 0x0
	v_mad_u64_u32 v[1:2], s[4:5], s6, 37, v[0:1]
	v_mov_b32_e32 v2, 0
	s_mov_b32 s7, 0
	v_lshlrev_b64 v[3:4], 2, v[1:2]
	s_waitcnt lgkmcnt(0)
	v_mov_b32_e32 v1, s1
	v_add_co_u32_e32 v3, vcc, s0, v3
	v_addc_co_u32_e32 v4, vcc, v1, v4, vcc
	global_load_dword v3, v[3:4], off
	v_mbcnt_lo_u32_b32 v1, -1, 0
	v_mbcnt_hi_u32_b32 v1, -1, v1
	v_cmp_gt_u32_e32 vcc, 64, v0
	v_and_b32_e32 v5, 63, v1
	v_cndmask_b32_e64 v4, 0, 37, vcc
	v_cmp_ne_u32_e32 vcc, 63, v5
	v_addc_co_u32_e32 v10, vcc, 0, v1, vcc
	v_lshlrev_b32_e32 v10, 2, v10
	v_add_u32_e32 v6, 1, v1
	v_cmp_gt_u32_e32 vcc, 62, v5
	v_cndmask_b32_e64 v11, 0, 2, vcc
	v_cmp_lt_u32_e32 vcc, v6, v4
	v_add_lshl_u32 v11, v11, v1, 2
	v_add_u32_e32 v7, 2, v1
	v_add_u32_e32 v8, 4, v1
	;; [unrolled: 1-line block ×3, first 2 shown]
	s_waitcnt vmcnt(0)
	ds_bpermute_b32 v10, v10, v3
	s_waitcnt lgkmcnt(0)
	v_cndmask_b32_e32 v6, 0, v10, vcc
	v_add_u32_e32 v3, v6, v3
	ds_bpermute_b32 v6, v11, v3
	v_cmp_gt_u32_e32 vcc, 60, v5
	v_cndmask_b32_e64 v10, 0, 4, vcc
	v_cmp_lt_u32_e32 vcc, v7, v4
	v_add_lshl_u32 v10, v10, v1, 2
	s_waitcnt lgkmcnt(0)
	v_cndmask_b32_e32 v6, 0, v6, vcc
	v_add_u32_e32 v3, v3, v6
	ds_bpermute_b32 v6, v10, v3
	v_cmp_gt_u32_e32 vcc, 56, v5
	v_cndmask_b32_e64 v7, 0, 8, vcc
	v_cmp_lt_u32_e32 vcc, v8, v4
	v_add_lshl_u32 v7, v7, v1, 2
	;; [unrolled: 8-line block ×3, first 2 shown]
	s_waitcnt lgkmcnt(0)
	v_cndmask_b32_e32 v6, 0, v6, vcc
	v_add_u32_e32 v3, v3, v6
	ds_bpermute_b32 v5, v5, v3
	v_add_u32_e32 v7, 16, v1
	v_cmp_lt_u32_e32 vcc, v7, v4
	v_mov_b32_e32 v6, 0x80
	s_waitcnt lgkmcnt(0)
	v_cndmask_b32_e32 v4, 0, v5, vcc
	v_add_u32_e32 v3, v3, v4
	v_lshl_or_b32 v4, v1, 2, v6
	ds_bpermute_b32 v4, v4, v3
	v_cmp_eq_u32_e32 vcc, 0, v0
	s_and_saveexec_b64 s[0:1], vcc
	s_cbranch_execz .LBB33_2
; %bb.1:
	v_add_u32_e32 v0, 32, v1
	s_lshl_b64 s[0:1], s[6:7], 2
	v_cmp_gt_u32_e32 vcc, 37, v0
	s_add_u32 s0, s2, s0
	s_waitcnt lgkmcnt(0)
	v_cndmask_b32_e32 v0, 0, v4, vcc
	s_addc_u32 s1, s3, s1
	v_add_u32_e32 v0, v3, v0
	global_store_dword v2, v0, s[0:1]
.LBB33_2:
	s_endpgm
	.section	.rodata,"a",@progbits
	.p2align	6, 0x0
	.amdhsa_kernel _Z13reduce_kernelILj37ELN6hipcub20BlockReduceAlgorithmE0EiEvPT1_S3_
		.amdhsa_group_segment_fixed_size 0
		.amdhsa_private_segment_fixed_size 0
		.amdhsa_kernarg_size 16
		.amdhsa_user_sgpr_count 6
		.amdhsa_user_sgpr_private_segment_buffer 1
		.amdhsa_user_sgpr_dispatch_ptr 0
		.amdhsa_user_sgpr_queue_ptr 0
		.amdhsa_user_sgpr_kernarg_segment_ptr 1
		.amdhsa_user_sgpr_dispatch_id 0
		.amdhsa_user_sgpr_flat_scratch_init 0
		.amdhsa_user_sgpr_private_segment_size 0
		.amdhsa_uses_dynamic_stack 0
		.amdhsa_system_sgpr_private_segment_wavefront_offset 0
		.amdhsa_system_sgpr_workgroup_id_x 1
		.amdhsa_system_sgpr_workgroup_id_y 0
		.amdhsa_system_sgpr_workgroup_id_z 0
		.amdhsa_system_sgpr_workgroup_info 0
		.amdhsa_system_vgpr_workitem_id 0
		.amdhsa_next_free_vgpr 12
		.amdhsa_next_free_sgpr 8
		.amdhsa_reserve_vcc 1
		.amdhsa_reserve_flat_scratch 0
		.amdhsa_float_round_mode_32 0
		.amdhsa_float_round_mode_16_64 0
		.amdhsa_float_denorm_mode_32 3
		.amdhsa_float_denorm_mode_16_64 3
		.amdhsa_dx10_clamp 1
		.amdhsa_ieee_mode 1
		.amdhsa_fp16_overflow 0
		.amdhsa_exception_fp_ieee_invalid_op 0
		.amdhsa_exception_fp_denorm_src 0
		.amdhsa_exception_fp_ieee_div_zero 0
		.amdhsa_exception_fp_ieee_overflow 0
		.amdhsa_exception_fp_ieee_underflow 0
		.amdhsa_exception_fp_ieee_inexact 0
		.amdhsa_exception_int_div_zero 0
	.end_amdhsa_kernel
	.section	.text._Z13reduce_kernelILj37ELN6hipcub20BlockReduceAlgorithmE0EiEvPT1_S3_,"axG",@progbits,_Z13reduce_kernelILj37ELN6hipcub20BlockReduceAlgorithmE0EiEvPT1_S3_,comdat
.Lfunc_end33:
	.size	_Z13reduce_kernelILj37ELN6hipcub20BlockReduceAlgorithmE0EiEvPT1_S3_, .Lfunc_end33-_Z13reduce_kernelILj37ELN6hipcub20BlockReduceAlgorithmE0EiEvPT1_S3_
                                        ; -- End function
	.set _Z13reduce_kernelILj37ELN6hipcub20BlockReduceAlgorithmE0EiEvPT1_S3_.num_vgpr, 12
	.set _Z13reduce_kernelILj37ELN6hipcub20BlockReduceAlgorithmE0EiEvPT1_S3_.num_agpr, 0
	.set _Z13reduce_kernelILj37ELN6hipcub20BlockReduceAlgorithmE0EiEvPT1_S3_.numbered_sgpr, 8
	.set _Z13reduce_kernelILj37ELN6hipcub20BlockReduceAlgorithmE0EiEvPT1_S3_.num_named_barrier, 0
	.set _Z13reduce_kernelILj37ELN6hipcub20BlockReduceAlgorithmE0EiEvPT1_S3_.private_seg_size, 0
	.set _Z13reduce_kernelILj37ELN6hipcub20BlockReduceAlgorithmE0EiEvPT1_S3_.uses_vcc, 1
	.set _Z13reduce_kernelILj37ELN6hipcub20BlockReduceAlgorithmE0EiEvPT1_S3_.uses_flat_scratch, 0
	.set _Z13reduce_kernelILj37ELN6hipcub20BlockReduceAlgorithmE0EiEvPT1_S3_.has_dyn_sized_stack, 0
	.set _Z13reduce_kernelILj37ELN6hipcub20BlockReduceAlgorithmE0EiEvPT1_S3_.has_recursion, 0
	.set _Z13reduce_kernelILj37ELN6hipcub20BlockReduceAlgorithmE0EiEvPT1_S3_.has_indirect_call, 0
	.section	.AMDGPU.csdata,"",@progbits
; Kernel info:
; codeLenInByte = 404
; TotalNumSgprs: 12
; NumVgprs: 12
; ScratchSize: 0
; MemoryBound: 0
; FloatMode: 240
; IeeeMode: 1
; LDSByteSize: 0 bytes/workgroup (compile time only)
; SGPRBlocks: 1
; VGPRBlocks: 2
; NumSGPRsForWavesPerEU: 12
; NumVGPRsForWavesPerEU: 12
; Occupancy: 10
; WaveLimiterHint : 0
; COMPUTE_PGM_RSRC2:SCRATCH_EN: 0
; COMPUTE_PGM_RSRC2:USER_SGPR: 6
; COMPUTE_PGM_RSRC2:TRAP_HANDLER: 0
; COMPUTE_PGM_RSRC2:TGID_X_EN: 1
; COMPUTE_PGM_RSRC2:TGID_Y_EN: 0
; COMPUTE_PGM_RSRC2:TGID_Z_EN: 0
; COMPUTE_PGM_RSRC2:TIDIG_COMP_CNT: 0
	.section	.text._Z13reduce_kernelILj65ELN6hipcub20BlockReduceAlgorithmE0EiEvPT1_S3_,"axG",@progbits,_Z13reduce_kernelILj65ELN6hipcub20BlockReduceAlgorithmE0EiEvPT1_S3_,comdat
	.protected	_Z13reduce_kernelILj65ELN6hipcub20BlockReduceAlgorithmE0EiEvPT1_S3_ ; -- Begin function _Z13reduce_kernelILj65ELN6hipcub20BlockReduceAlgorithmE0EiEvPT1_S3_
	.globl	_Z13reduce_kernelILj65ELN6hipcub20BlockReduceAlgorithmE0EiEvPT1_S3_
	.p2align	8
	.type	_Z13reduce_kernelILj65ELN6hipcub20BlockReduceAlgorithmE0EiEvPT1_S3_,@function
_Z13reduce_kernelILj65ELN6hipcub20BlockReduceAlgorithmE0EiEvPT1_S3_: ; @_Z13reduce_kernelILj65ELN6hipcub20BlockReduceAlgorithmE0EiEvPT1_S3_
; %bb.0:
	s_load_dwordx4 s[0:3], s[4:5], 0x0
	s_mul_i32 s4, s6, 0x41
	v_add_u32_e32 v1, s4, v0
	v_mov_b32_e32 v2, 0
	v_lshlrev_b64 v[1:2], 2, v[1:2]
	s_waitcnt lgkmcnt(0)
	v_mov_b32_e32 v3, s1
	v_add_co_u32_e32 v1, vcc, s0, v1
	v_addc_co_u32_e32 v2, vcc, v3, v2, vcc
	global_load_dword v2, v[1:2], off
	v_mbcnt_lo_u32_b32 v1, -1, 0
	s_movk_i32 s0, 0x80
	v_mbcnt_hi_u32_b32 v1, -1, v1
	v_and_b32_e32 v3, 64, v0
	v_xor_b32_e32 v3, 0x41, v3
	v_and_b32_e32 v4, 63, v1
	v_cmp_gt_u32_e32 vcc, s0, v0
	v_cndmask_b32_e32 v9, 0, v3, vcc
	v_cmp_ne_u32_e32 vcc, 63, v4
	v_addc_co_u32_e32 v3, vcc, 0, v1, vcc
	v_lshlrev_b32_e32 v3, 2, v3
	v_add_u32_e32 v5, 1, v1
	v_cmp_gt_u32_e32 vcc, 62, v4
	v_cndmask_b32_e64 v10, 0, 2, vcc
	v_cmp_lt_u32_e32 vcc, v5, v9
	v_add_lshl_u32 v10, v10, v1, 2
	v_add_u32_e32 v6, 2, v1
	v_add_u32_e32 v7, 4, v1
	v_add_u32_e32 v8, 8, v1
	s_waitcnt vmcnt(0)
	ds_bpermute_b32 v3, v3, v2
	s_waitcnt lgkmcnt(0)
	v_cndmask_b32_e32 v3, 0, v3, vcc
	v_add_u32_e32 v2, v3, v2
	ds_bpermute_b32 v3, v10, v2
	v_cmp_gt_u32_e32 vcc, 60, v4
	v_cndmask_b32_e64 v5, 0, 4, vcc
	v_cmp_lt_u32_e32 vcc, v6, v9
	v_add_lshl_u32 v5, v5, v1, 2
	s_waitcnt lgkmcnt(0)
	v_cndmask_b32_e32 v3, 0, v3, vcc
	v_add_u32_e32 v2, v2, v3
	ds_bpermute_b32 v3, v5, v2
	v_cmp_gt_u32_e32 vcc, 56, v4
	v_cndmask_b32_e64 v5, 0, 8, vcc
	v_cmp_lt_u32_e32 vcc, v7, v9
	v_add_lshl_u32 v5, v5, v1, 2
	;; [unrolled: 8-line block ×3, first 2 shown]
	s_waitcnt lgkmcnt(0)
	v_cndmask_b32_e32 v3, 0, v3, vcc
	v_add_u32_e32 v2, v2, v3
	ds_bpermute_b32 v4, v4, v2
	v_add_u32_e32 v5, 16, v1
	v_cmp_lt_u32_e32 vcc, v5, v9
	v_lshlrev_b32_e32 v3, 2, v1
	v_or_b32_e32 v6, 0x80, v3
	s_waitcnt lgkmcnt(0)
	v_cndmask_b32_e32 v4, 0, v4, vcc
	v_add_u32_e32 v2, v2, v4
	ds_bpermute_b32 v4, v6, v2
	v_add_u32_e32 v5, 32, v1
	v_cmp_lt_u32_e32 vcc, v5, v9
	s_waitcnt lgkmcnt(0)
	v_cndmask_b32_e32 v4, 0, v4, vcc
	v_add_u32_e32 v2, v2, v4
	v_cmp_eq_u32_e32 vcc, 0, v1
	s_and_saveexec_b64 s[0:1], vcc
; %bb.1:
	v_lshrrev_b32_e32 v4, 4, v0
	v_and_b32_e32 v4, 4, v4
	ds_write_b32 v4, v2
; %bb.2:
	s_or_b64 exec, exec, s[0:1]
	v_cmp_gt_u32_e32 vcc, 64, v0
	s_waitcnt lgkmcnt(0)
	s_barrier
	s_and_saveexec_b64 s[0:1], vcc
	s_cbranch_execz .LBB34_4
; %bb.3:
	v_and_b32_e32 v1, 1, v1
	v_lshlrev_b32_e32 v1, 2, v1
	ds_read_b32 v1, v1
	v_or_b32_e32 v2, 4, v3
	s_waitcnt lgkmcnt(0)
	ds_bpermute_b32 v2, v2, v1
	s_waitcnt lgkmcnt(0)
	v_add_u32_e32 v2, v2, v1
.LBB34_4:
	s_or_b64 exec, exec, s[0:1]
	s_mov_b32 s7, 0
	v_cmp_eq_u32_e32 vcc, 0, v0
	s_and_saveexec_b64 s[0:1], vcc
	s_cbranch_execz .LBB34_6
; %bb.5:
	s_lshl_b64 s[0:1], s[6:7], 2
	s_add_u32 s0, s2, s0
	s_addc_u32 s1, s3, s1
	v_mov_b32_e32 v0, 0
	global_store_dword v0, v2, s[0:1]
.LBB34_6:
	s_endpgm
	.section	.rodata,"a",@progbits
	.p2align	6, 0x0
	.amdhsa_kernel _Z13reduce_kernelILj65ELN6hipcub20BlockReduceAlgorithmE0EiEvPT1_S3_
		.amdhsa_group_segment_fixed_size 8
		.amdhsa_private_segment_fixed_size 0
		.amdhsa_kernarg_size 16
		.amdhsa_user_sgpr_count 6
		.amdhsa_user_sgpr_private_segment_buffer 1
		.amdhsa_user_sgpr_dispatch_ptr 0
		.amdhsa_user_sgpr_queue_ptr 0
		.amdhsa_user_sgpr_kernarg_segment_ptr 1
		.amdhsa_user_sgpr_dispatch_id 0
		.amdhsa_user_sgpr_flat_scratch_init 0
		.amdhsa_user_sgpr_private_segment_size 0
		.amdhsa_uses_dynamic_stack 0
		.amdhsa_system_sgpr_private_segment_wavefront_offset 0
		.amdhsa_system_sgpr_workgroup_id_x 1
		.amdhsa_system_sgpr_workgroup_id_y 0
		.amdhsa_system_sgpr_workgroup_id_z 0
		.amdhsa_system_sgpr_workgroup_info 0
		.amdhsa_system_vgpr_workitem_id 0
		.amdhsa_next_free_vgpr 11
		.amdhsa_next_free_sgpr 8
		.amdhsa_reserve_vcc 1
		.amdhsa_reserve_flat_scratch 0
		.amdhsa_float_round_mode_32 0
		.amdhsa_float_round_mode_16_64 0
		.amdhsa_float_denorm_mode_32 3
		.amdhsa_float_denorm_mode_16_64 3
		.amdhsa_dx10_clamp 1
		.amdhsa_ieee_mode 1
		.amdhsa_fp16_overflow 0
		.amdhsa_exception_fp_ieee_invalid_op 0
		.amdhsa_exception_fp_denorm_src 0
		.amdhsa_exception_fp_ieee_div_zero 0
		.amdhsa_exception_fp_ieee_overflow 0
		.amdhsa_exception_fp_ieee_underflow 0
		.amdhsa_exception_fp_ieee_inexact 0
		.amdhsa_exception_int_div_zero 0
	.end_amdhsa_kernel
	.section	.text._Z13reduce_kernelILj65ELN6hipcub20BlockReduceAlgorithmE0EiEvPT1_S3_,"axG",@progbits,_Z13reduce_kernelILj65ELN6hipcub20BlockReduceAlgorithmE0EiEvPT1_S3_,comdat
.Lfunc_end34:
	.size	_Z13reduce_kernelILj65ELN6hipcub20BlockReduceAlgorithmE0EiEvPT1_S3_, .Lfunc_end34-_Z13reduce_kernelILj65ELN6hipcub20BlockReduceAlgorithmE0EiEvPT1_S3_
                                        ; -- End function
	.set _Z13reduce_kernelILj65ELN6hipcub20BlockReduceAlgorithmE0EiEvPT1_S3_.num_vgpr, 11
	.set _Z13reduce_kernelILj65ELN6hipcub20BlockReduceAlgorithmE0EiEvPT1_S3_.num_agpr, 0
	.set _Z13reduce_kernelILj65ELN6hipcub20BlockReduceAlgorithmE0EiEvPT1_S3_.numbered_sgpr, 8
	.set _Z13reduce_kernelILj65ELN6hipcub20BlockReduceAlgorithmE0EiEvPT1_S3_.num_named_barrier, 0
	.set _Z13reduce_kernelILj65ELN6hipcub20BlockReduceAlgorithmE0EiEvPT1_S3_.private_seg_size, 0
	.set _Z13reduce_kernelILj65ELN6hipcub20BlockReduceAlgorithmE0EiEvPT1_S3_.uses_vcc, 1
	.set _Z13reduce_kernelILj65ELN6hipcub20BlockReduceAlgorithmE0EiEvPT1_S3_.uses_flat_scratch, 0
	.set _Z13reduce_kernelILj65ELN6hipcub20BlockReduceAlgorithmE0EiEvPT1_S3_.has_dyn_sized_stack, 0
	.set _Z13reduce_kernelILj65ELN6hipcub20BlockReduceAlgorithmE0EiEvPT1_S3_.has_recursion, 0
	.set _Z13reduce_kernelILj65ELN6hipcub20BlockReduceAlgorithmE0EiEvPT1_S3_.has_indirect_call, 0
	.section	.AMDGPU.csdata,"",@progbits
; Kernel info:
; codeLenInByte = 512
; TotalNumSgprs: 12
; NumVgprs: 11
; ScratchSize: 0
; MemoryBound: 0
; FloatMode: 240
; IeeeMode: 1
; LDSByteSize: 8 bytes/workgroup (compile time only)
; SGPRBlocks: 1
; VGPRBlocks: 2
; NumSGPRsForWavesPerEU: 12
; NumVGPRsForWavesPerEU: 11
; Occupancy: 10
; WaveLimiterHint : 0
; COMPUTE_PGM_RSRC2:SCRATCH_EN: 0
; COMPUTE_PGM_RSRC2:USER_SGPR: 6
; COMPUTE_PGM_RSRC2:TRAP_HANDLER: 0
; COMPUTE_PGM_RSRC2:TGID_X_EN: 1
; COMPUTE_PGM_RSRC2:TGID_Y_EN: 0
; COMPUTE_PGM_RSRC2:TGID_Z_EN: 0
; COMPUTE_PGM_RSRC2:TIDIG_COMP_CNT: 0
	.section	.text._Z13reduce_kernelILj1024ELN6hipcub20BlockReduceAlgorithmE0EiEvPT1_S3_,"axG",@progbits,_Z13reduce_kernelILj1024ELN6hipcub20BlockReduceAlgorithmE0EiEvPT1_S3_,comdat
	.protected	_Z13reduce_kernelILj1024ELN6hipcub20BlockReduceAlgorithmE0EiEvPT1_S3_ ; -- Begin function _Z13reduce_kernelILj1024ELN6hipcub20BlockReduceAlgorithmE0EiEvPT1_S3_
	.globl	_Z13reduce_kernelILj1024ELN6hipcub20BlockReduceAlgorithmE0EiEvPT1_S3_
	.p2align	8
	.type	_Z13reduce_kernelILj1024ELN6hipcub20BlockReduceAlgorithmE0EiEvPT1_S3_,@function
_Z13reduce_kernelILj1024ELN6hipcub20BlockReduceAlgorithmE0EiEvPT1_S3_: ; @_Z13reduce_kernelILj1024ELN6hipcub20BlockReduceAlgorithmE0EiEvPT1_S3_
; %bb.0:
	s_load_dwordx4 s[0:3], s[4:5], 0x0
	v_lshl_or_b32 v1, s6, 10, v0
	v_mov_b32_e32 v2, 0
	v_lshlrev_b64 v[1:2], 2, v[1:2]
	s_waitcnt lgkmcnt(0)
	v_mov_b32_e32 v3, s1
	v_add_co_u32_e32 v1, vcc, s0, v1
	v_addc_co_u32_e32 v2, vcc, v3, v2, vcc
	global_load_dword v3, v[1:2], off
	v_mbcnt_lo_u32_b32 v1, -1, 0
	v_mbcnt_hi_u32_b32 v1, -1, v1
	v_lshlrev_b32_e32 v2, 2, v1
	v_cmp_eq_u32_e32 vcc, 0, v1
	s_waitcnt vmcnt(0)
	v_mov_b32_dpp v4, v3 quad_perm:[1,0,3,2] row_mask:0xf bank_mask:0xf
	v_add_u32_e32 v3, v4, v3
	s_nop 1
	v_mov_b32_dpp v4, v3 quad_perm:[2,3,0,1] row_mask:0xf bank_mask:0xf
	v_add_u32_e32 v3, v3, v4
	s_nop 1
	v_mov_b32_dpp v4, v3 row_ror:4 row_mask:0xf bank_mask:0xf
	v_add_u32_e32 v3, v3, v4
	s_nop 1
	v_mov_b32_dpp v4, v3 row_ror:8 row_mask:0xf bank_mask:0xf
	v_add_u32_e32 v3, v3, v4
	s_nop 1
	v_mov_b32_dpp v4, v3 row_bcast:15 row_mask:0xf bank_mask:0xf
	v_add_u32_e32 v3, v3, v4
	s_nop 1
	v_mov_b32_dpp v4, v3 row_bcast:31 row_mask:0xf bank_mask:0xf
	v_add_u32_e32 v3, v3, v4
	v_or_b32_e32 v4, 0xfc, v2
	ds_bpermute_b32 v3, v4, v3
	s_and_saveexec_b64 s[0:1], vcc
	s_cbranch_execz .LBB35_2
; %bb.1:
	v_lshrrev_b32_e32 v4, 4, v0
	v_and_b32_e32 v4, 60, v4
	s_waitcnt lgkmcnt(0)
	ds_write_b32 v4, v3
.LBB35_2:
	s_or_b64 exec, exec, s[0:1]
	v_cmp_gt_u32_e32 vcc, 64, v0
	s_waitcnt lgkmcnt(0)
	s_barrier
	s_and_saveexec_b64 s[0:1], vcc
	s_cbranch_execz .LBB35_4
; %bb.3:
	v_and_b32_e32 v3, 15, v1
	v_lshlrev_b32_e32 v4, 2, v3
	ds_read_b32 v4, v4
	v_cmp_ne_u32_e32 vcc, 15, v3
	v_addc_co_u32_e32 v5, vcc, 0, v1, vcc
	v_lshlrev_b32_e32 v5, 2, v5
	s_waitcnt lgkmcnt(0)
	ds_bpermute_b32 v5, v5, v4
	v_cmp_gt_u32_e32 vcc, 14, v3
	v_cndmask_b32_e64 v6, 0, 2, vcc
	v_add_lshl_u32 v6, v6, v1, 2
	v_cmp_gt_u32_e32 vcc, 12, v3
	s_waitcnt lgkmcnt(0)
	v_add_u32_e32 v4, v5, v4
	ds_bpermute_b32 v5, v6, v4
	v_cndmask_b32_e64 v3, 0, 4, vcc
	v_add_lshl_u32 v1, v3, v1, 2
	v_or_b32_e32 v2, 32, v2
	s_waitcnt lgkmcnt(0)
	v_add_u32_e32 v3, v5, v4
	ds_bpermute_b32 v1, v1, v3
	s_waitcnt lgkmcnt(0)
	v_add_u32_e32 v1, v1, v3
	ds_bpermute_b32 v2, v2, v1
	s_waitcnt lgkmcnt(0)
	v_add_u32_e32 v3, v2, v1
.LBB35_4:
	s_or_b64 exec, exec, s[0:1]
	s_mov_b32 s7, 0
	v_cmp_eq_u32_e32 vcc, 0, v0
	s_and_saveexec_b64 s[0:1], vcc
	s_cbranch_execz .LBB35_6
; %bb.5:
	s_lshl_b64 s[0:1], s[6:7], 2
	s_add_u32 s0, s2, s0
	s_addc_u32 s1, s3, s1
	v_mov_b32_e32 v0, 0
	global_store_dword v0, v3, s[0:1]
.LBB35_6:
	s_endpgm
	.section	.rodata,"a",@progbits
	.p2align	6, 0x0
	.amdhsa_kernel _Z13reduce_kernelILj1024ELN6hipcub20BlockReduceAlgorithmE0EiEvPT1_S3_
		.amdhsa_group_segment_fixed_size 64
		.amdhsa_private_segment_fixed_size 0
		.amdhsa_kernarg_size 16
		.amdhsa_user_sgpr_count 6
		.amdhsa_user_sgpr_private_segment_buffer 1
		.amdhsa_user_sgpr_dispatch_ptr 0
		.amdhsa_user_sgpr_queue_ptr 0
		.amdhsa_user_sgpr_kernarg_segment_ptr 1
		.amdhsa_user_sgpr_dispatch_id 0
		.amdhsa_user_sgpr_flat_scratch_init 0
		.amdhsa_user_sgpr_private_segment_size 0
		.amdhsa_uses_dynamic_stack 0
		.amdhsa_system_sgpr_private_segment_wavefront_offset 0
		.amdhsa_system_sgpr_workgroup_id_x 1
		.amdhsa_system_sgpr_workgroup_id_y 0
		.amdhsa_system_sgpr_workgroup_id_z 0
		.amdhsa_system_sgpr_workgroup_info 0
		.amdhsa_system_vgpr_workitem_id 0
		.amdhsa_next_free_vgpr 7
		.amdhsa_next_free_sgpr 8
		.amdhsa_reserve_vcc 1
		.amdhsa_reserve_flat_scratch 0
		.amdhsa_float_round_mode_32 0
		.amdhsa_float_round_mode_16_64 0
		.amdhsa_float_denorm_mode_32 3
		.amdhsa_float_denorm_mode_16_64 3
		.amdhsa_dx10_clamp 1
		.amdhsa_ieee_mode 1
		.amdhsa_fp16_overflow 0
		.amdhsa_exception_fp_ieee_invalid_op 0
		.amdhsa_exception_fp_denorm_src 0
		.amdhsa_exception_fp_ieee_div_zero 0
		.amdhsa_exception_fp_ieee_overflow 0
		.amdhsa_exception_fp_ieee_underflow 0
		.amdhsa_exception_fp_ieee_inexact 0
		.amdhsa_exception_int_div_zero 0
	.end_amdhsa_kernel
	.section	.text._Z13reduce_kernelILj1024ELN6hipcub20BlockReduceAlgorithmE0EiEvPT1_S3_,"axG",@progbits,_Z13reduce_kernelILj1024ELN6hipcub20BlockReduceAlgorithmE0EiEvPT1_S3_,comdat
.Lfunc_end35:
	.size	_Z13reduce_kernelILj1024ELN6hipcub20BlockReduceAlgorithmE0EiEvPT1_S3_, .Lfunc_end35-_Z13reduce_kernelILj1024ELN6hipcub20BlockReduceAlgorithmE0EiEvPT1_S3_
                                        ; -- End function
	.set _Z13reduce_kernelILj1024ELN6hipcub20BlockReduceAlgorithmE0EiEvPT1_S3_.num_vgpr, 7
	.set _Z13reduce_kernelILj1024ELN6hipcub20BlockReduceAlgorithmE0EiEvPT1_S3_.num_agpr, 0
	.set _Z13reduce_kernelILj1024ELN6hipcub20BlockReduceAlgorithmE0EiEvPT1_S3_.numbered_sgpr, 8
	.set _Z13reduce_kernelILj1024ELN6hipcub20BlockReduceAlgorithmE0EiEvPT1_S3_.num_named_barrier, 0
	.set _Z13reduce_kernelILj1024ELN6hipcub20BlockReduceAlgorithmE0EiEvPT1_S3_.private_seg_size, 0
	.set _Z13reduce_kernelILj1024ELN6hipcub20BlockReduceAlgorithmE0EiEvPT1_S3_.uses_vcc, 1
	.set _Z13reduce_kernelILj1024ELN6hipcub20BlockReduceAlgorithmE0EiEvPT1_S3_.uses_flat_scratch, 0
	.set _Z13reduce_kernelILj1024ELN6hipcub20BlockReduceAlgorithmE0EiEvPT1_S3_.has_dyn_sized_stack, 0
	.set _Z13reduce_kernelILj1024ELN6hipcub20BlockReduceAlgorithmE0EiEvPT1_S3_.has_recursion, 0
	.set _Z13reduce_kernelILj1024ELN6hipcub20BlockReduceAlgorithmE0EiEvPT1_S3_.has_indirect_call, 0
	.section	.AMDGPU.csdata,"",@progbits
; Kernel info:
; codeLenInByte = 428
; TotalNumSgprs: 12
; NumVgprs: 7
; ScratchSize: 0
; MemoryBound: 0
; FloatMode: 240
; IeeeMode: 1
; LDSByteSize: 64 bytes/workgroup (compile time only)
; SGPRBlocks: 1
; VGPRBlocks: 1
; NumSGPRsForWavesPerEU: 12
; NumVGPRsForWavesPerEU: 7
; Occupancy: 10
; WaveLimiterHint : 0
; COMPUTE_PGM_RSRC2:SCRATCH_EN: 0
; COMPUTE_PGM_RSRC2:USER_SGPR: 6
; COMPUTE_PGM_RSRC2:TRAP_HANDLER: 0
; COMPUTE_PGM_RSRC2:TGID_X_EN: 1
; COMPUTE_PGM_RSRC2:TGID_Y_EN: 0
; COMPUTE_PGM_RSRC2:TGID_Z_EN: 0
; COMPUTE_PGM_RSRC2:TIDIG_COMP_CNT: 0
	.section	.text._Z13reduce_kernelILj512ELN6hipcub20BlockReduceAlgorithmE0EiEvPT1_S3_,"axG",@progbits,_Z13reduce_kernelILj512ELN6hipcub20BlockReduceAlgorithmE0EiEvPT1_S3_,comdat
	.protected	_Z13reduce_kernelILj512ELN6hipcub20BlockReduceAlgorithmE0EiEvPT1_S3_ ; -- Begin function _Z13reduce_kernelILj512ELN6hipcub20BlockReduceAlgorithmE0EiEvPT1_S3_
	.globl	_Z13reduce_kernelILj512ELN6hipcub20BlockReduceAlgorithmE0EiEvPT1_S3_
	.p2align	8
	.type	_Z13reduce_kernelILj512ELN6hipcub20BlockReduceAlgorithmE0EiEvPT1_S3_,@function
_Z13reduce_kernelILj512ELN6hipcub20BlockReduceAlgorithmE0EiEvPT1_S3_: ; @_Z13reduce_kernelILj512ELN6hipcub20BlockReduceAlgorithmE0EiEvPT1_S3_
; %bb.0:
	s_load_dwordx4 s[0:3], s[4:5], 0x0
	v_lshl_or_b32 v1, s6, 9, v0
	v_mov_b32_e32 v2, 0
	v_lshlrev_b64 v[1:2], 2, v[1:2]
	s_waitcnt lgkmcnt(0)
	v_mov_b32_e32 v3, s1
	v_add_co_u32_e32 v1, vcc, s0, v1
	v_addc_co_u32_e32 v2, vcc, v3, v2, vcc
	global_load_dword v3, v[1:2], off
	v_mbcnt_lo_u32_b32 v1, -1, 0
	v_mbcnt_hi_u32_b32 v1, -1, v1
	v_lshlrev_b32_e32 v2, 2, v1
	v_cmp_eq_u32_e32 vcc, 0, v1
	s_waitcnt vmcnt(0)
	v_mov_b32_dpp v4, v3 quad_perm:[1,0,3,2] row_mask:0xf bank_mask:0xf
	v_add_u32_e32 v3, v4, v3
	s_nop 1
	v_mov_b32_dpp v4, v3 quad_perm:[2,3,0,1] row_mask:0xf bank_mask:0xf
	v_add_u32_e32 v3, v3, v4
	s_nop 1
	v_mov_b32_dpp v4, v3 row_ror:4 row_mask:0xf bank_mask:0xf
	v_add_u32_e32 v3, v3, v4
	s_nop 1
	v_mov_b32_dpp v4, v3 row_ror:8 row_mask:0xf bank_mask:0xf
	v_add_u32_e32 v3, v3, v4
	s_nop 1
	v_mov_b32_dpp v4, v3 row_bcast:15 row_mask:0xf bank_mask:0xf
	v_add_u32_e32 v3, v3, v4
	s_nop 1
	v_mov_b32_dpp v4, v3 row_bcast:31 row_mask:0xf bank_mask:0xf
	v_add_u32_e32 v3, v3, v4
	v_or_b32_e32 v4, 0xfc, v2
	ds_bpermute_b32 v3, v4, v3
	s_and_saveexec_b64 s[0:1], vcc
	s_cbranch_execz .LBB36_2
; %bb.1:
	v_lshrrev_b32_e32 v4, 4, v0
	v_and_b32_e32 v4, 28, v4
	s_waitcnt lgkmcnt(0)
	ds_write_b32 v4, v3
.LBB36_2:
	s_or_b64 exec, exec, s[0:1]
	v_cmp_gt_u32_e32 vcc, 64, v0
	s_waitcnt lgkmcnt(0)
	s_barrier
	s_and_saveexec_b64 s[0:1], vcc
	s_cbranch_execz .LBB36_4
; %bb.3:
	v_and_b32_e32 v3, 7, v1
	v_lshlrev_b32_e32 v4, 2, v3
	ds_read_b32 v4, v4
	v_cmp_ne_u32_e32 vcc, 7, v3
	v_addc_co_u32_e32 v5, vcc, 0, v1, vcc
	v_lshlrev_b32_e32 v5, 2, v5
	s_waitcnt lgkmcnt(0)
	ds_bpermute_b32 v5, v5, v4
	v_cmp_gt_u32_e32 vcc, 6, v3
	v_cndmask_b32_e64 v3, 0, 2, vcc
	v_add_lshl_u32 v1, v3, v1, 2
	v_or_b32_e32 v2, 16, v2
	s_waitcnt lgkmcnt(0)
	v_add_u32_e32 v3, v5, v4
	ds_bpermute_b32 v1, v1, v3
	s_waitcnt lgkmcnt(0)
	v_add_u32_e32 v1, v1, v3
	ds_bpermute_b32 v2, v2, v1
	s_waitcnt lgkmcnt(0)
	v_add_u32_e32 v3, v2, v1
.LBB36_4:
	s_or_b64 exec, exec, s[0:1]
	s_mov_b32 s7, 0
	v_cmp_eq_u32_e32 vcc, 0, v0
	s_and_saveexec_b64 s[0:1], vcc
	s_cbranch_execz .LBB36_6
; %bb.5:
	s_lshl_b64 s[0:1], s[6:7], 2
	s_add_u32 s0, s2, s0
	s_addc_u32 s1, s3, s1
	v_mov_b32_e32 v0, 0
	global_store_dword v0, v3, s[0:1]
.LBB36_6:
	s_endpgm
	.section	.rodata,"a",@progbits
	.p2align	6, 0x0
	.amdhsa_kernel _Z13reduce_kernelILj512ELN6hipcub20BlockReduceAlgorithmE0EiEvPT1_S3_
		.amdhsa_group_segment_fixed_size 32
		.amdhsa_private_segment_fixed_size 0
		.amdhsa_kernarg_size 16
		.amdhsa_user_sgpr_count 6
		.amdhsa_user_sgpr_private_segment_buffer 1
		.amdhsa_user_sgpr_dispatch_ptr 0
		.amdhsa_user_sgpr_queue_ptr 0
		.amdhsa_user_sgpr_kernarg_segment_ptr 1
		.amdhsa_user_sgpr_dispatch_id 0
		.amdhsa_user_sgpr_flat_scratch_init 0
		.amdhsa_user_sgpr_private_segment_size 0
		.amdhsa_uses_dynamic_stack 0
		.amdhsa_system_sgpr_private_segment_wavefront_offset 0
		.amdhsa_system_sgpr_workgroup_id_x 1
		.amdhsa_system_sgpr_workgroup_id_y 0
		.amdhsa_system_sgpr_workgroup_id_z 0
		.amdhsa_system_sgpr_workgroup_info 0
		.amdhsa_system_vgpr_workitem_id 0
		.amdhsa_next_free_vgpr 6
		.amdhsa_next_free_sgpr 8
		.amdhsa_reserve_vcc 1
		.amdhsa_reserve_flat_scratch 0
		.amdhsa_float_round_mode_32 0
		.amdhsa_float_round_mode_16_64 0
		.amdhsa_float_denorm_mode_32 3
		.amdhsa_float_denorm_mode_16_64 3
		.amdhsa_dx10_clamp 1
		.amdhsa_ieee_mode 1
		.amdhsa_fp16_overflow 0
		.amdhsa_exception_fp_ieee_invalid_op 0
		.amdhsa_exception_fp_denorm_src 0
		.amdhsa_exception_fp_ieee_div_zero 0
		.amdhsa_exception_fp_ieee_overflow 0
		.amdhsa_exception_fp_ieee_underflow 0
		.amdhsa_exception_fp_ieee_inexact 0
		.amdhsa_exception_int_div_zero 0
	.end_amdhsa_kernel
	.section	.text._Z13reduce_kernelILj512ELN6hipcub20BlockReduceAlgorithmE0EiEvPT1_S3_,"axG",@progbits,_Z13reduce_kernelILj512ELN6hipcub20BlockReduceAlgorithmE0EiEvPT1_S3_,comdat
.Lfunc_end36:
	.size	_Z13reduce_kernelILj512ELN6hipcub20BlockReduceAlgorithmE0EiEvPT1_S3_, .Lfunc_end36-_Z13reduce_kernelILj512ELN6hipcub20BlockReduceAlgorithmE0EiEvPT1_S3_
                                        ; -- End function
	.set _Z13reduce_kernelILj512ELN6hipcub20BlockReduceAlgorithmE0EiEvPT1_S3_.num_vgpr, 6
	.set _Z13reduce_kernelILj512ELN6hipcub20BlockReduceAlgorithmE0EiEvPT1_S3_.num_agpr, 0
	.set _Z13reduce_kernelILj512ELN6hipcub20BlockReduceAlgorithmE0EiEvPT1_S3_.numbered_sgpr, 8
	.set _Z13reduce_kernelILj512ELN6hipcub20BlockReduceAlgorithmE0EiEvPT1_S3_.num_named_barrier, 0
	.set _Z13reduce_kernelILj512ELN6hipcub20BlockReduceAlgorithmE0EiEvPT1_S3_.private_seg_size, 0
	.set _Z13reduce_kernelILj512ELN6hipcub20BlockReduceAlgorithmE0EiEvPT1_S3_.uses_vcc, 1
	.set _Z13reduce_kernelILj512ELN6hipcub20BlockReduceAlgorithmE0EiEvPT1_S3_.uses_flat_scratch, 0
	.set _Z13reduce_kernelILj512ELN6hipcub20BlockReduceAlgorithmE0EiEvPT1_S3_.has_dyn_sized_stack, 0
	.set _Z13reduce_kernelILj512ELN6hipcub20BlockReduceAlgorithmE0EiEvPT1_S3_.has_recursion, 0
	.set _Z13reduce_kernelILj512ELN6hipcub20BlockReduceAlgorithmE0EiEvPT1_S3_.has_indirect_call, 0
	.section	.AMDGPU.csdata,"",@progbits
; Kernel info:
; codeLenInByte = 392
; TotalNumSgprs: 12
; NumVgprs: 6
; ScratchSize: 0
; MemoryBound: 0
; FloatMode: 240
; IeeeMode: 1
; LDSByteSize: 32 bytes/workgroup (compile time only)
; SGPRBlocks: 1
; VGPRBlocks: 1
; NumSGPRsForWavesPerEU: 12
; NumVGPRsForWavesPerEU: 6
; Occupancy: 10
; WaveLimiterHint : 0
; COMPUTE_PGM_RSRC2:SCRATCH_EN: 0
; COMPUTE_PGM_RSRC2:USER_SGPR: 6
; COMPUTE_PGM_RSRC2:TRAP_HANDLER: 0
; COMPUTE_PGM_RSRC2:TGID_X_EN: 1
; COMPUTE_PGM_RSRC2:TGID_Y_EN: 0
; COMPUTE_PGM_RSRC2:TGID_Z_EN: 0
; COMPUTE_PGM_RSRC2:TIDIG_COMP_CNT: 0
	.section	.text._Z13reduce_kernelILj256ELN6hipcub20BlockReduceAlgorithmE0EiEvPT1_S3_,"axG",@progbits,_Z13reduce_kernelILj256ELN6hipcub20BlockReduceAlgorithmE0EiEvPT1_S3_,comdat
	.protected	_Z13reduce_kernelILj256ELN6hipcub20BlockReduceAlgorithmE0EiEvPT1_S3_ ; -- Begin function _Z13reduce_kernelILj256ELN6hipcub20BlockReduceAlgorithmE0EiEvPT1_S3_
	.globl	_Z13reduce_kernelILj256ELN6hipcub20BlockReduceAlgorithmE0EiEvPT1_S3_
	.p2align	8
	.type	_Z13reduce_kernelILj256ELN6hipcub20BlockReduceAlgorithmE0EiEvPT1_S3_,@function
_Z13reduce_kernelILj256ELN6hipcub20BlockReduceAlgorithmE0EiEvPT1_S3_: ; @_Z13reduce_kernelILj256ELN6hipcub20BlockReduceAlgorithmE0EiEvPT1_S3_
; %bb.0:
	s_load_dwordx4 s[0:3], s[4:5], 0x0
	v_lshl_or_b32 v1, s6, 8, v0
	v_mov_b32_e32 v2, 0
	v_lshlrev_b64 v[1:2], 2, v[1:2]
	s_waitcnt lgkmcnt(0)
	v_mov_b32_e32 v3, s1
	v_add_co_u32_e32 v1, vcc, s0, v1
	v_addc_co_u32_e32 v2, vcc, v3, v2, vcc
	global_load_dword v3, v[1:2], off
	v_mbcnt_lo_u32_b32 v1, -1, 0
	v_mbcnt_hi_u32_b32 v1, -1, v1
	v_lshlrev_b32_e32 v2, 2, v1
	v_cmp_eq_u32_e32 vcc, 0, v1
	s_waitcnt vmcnt(0)
	v_mov_b32_dpp v4, v3 quad_perm:[1,0,3,2] row_mask:0xf bank_mask:0xf
	v_add_u32_e32 v3, v4, v3
	s_nop 1
	v_mov_b32_dpp v4, v3 quad_perm:[2,3,0,1] row_mask:0xf bank_mask:0xf
	v_add_u32_e32 v3, v3, v4
	s_nop 1
	v_mov_b32_dpp v4, v3 row_ror:4 row_mask:0xf bank_mask:0xf
	v_add_u32_e32 v3, v3, v4
	s_nop 1
	v_mov_b32_dpp v4, v3 row_ror:8 row_mask:0xf bank_mask:0xf
	v_add_u32_e32 v3, v3, v4
	s_nop 1
	v_mov_b32_dpp v4, v3 row_bcast:15 row_mask:0xf bank_mask:0xf
	v_add_u32_e32 v3, v3, v4
	s_nop 1
	v_mov_b32_dpp v4, v3 row_bcast:31 row_mask:0xf bank_mask:0xf
	v_add_u32_e32 v3, v3, v4
	v_or_b32_e32 v4, 0xfc, v2
	ds_bpermute_b32 v3, v4, v3
	s_and_saveexec_b64 s[0:1], vcc
	s_cbranch_execz .LBB37_2
; %bb.1:
	v_lshrrev_b32_e32 v4, 4, v0
	v_and_b32_e32 v4, 12, v4
	s_waitcnt lgkmcnt(0)
	ds_write_b32 v4, v3
.LBB37_2:
	s_or_b64 exec, exec, s[0:1]
	v_cmp_gt_u32_e32 vcc, 64, v0
	s_waitcnt lgkmcnt(0)
	s_barrier
	s_and_saveexec_b64 s[0:1], vcc
	s_cbranch_execz .LBB37_4
; %bb.3:
	v_and_b32_e32 v3, 3, v1
	v_lshlrev_b32_e32 v4, 2, v3
	ds_read_b32 v4, v4
	v_cmp_ne_u32_e32 vcc, 3, v3
	v_addc_co_u32_e32 v1, vcc, 0, v1, vcc
	v_lshlrev_b32_e32 v1, 2, v1
	s_waitcnt lgkmcnt(0)
	ds_bpermute_b32 v1, v1, v4
	v_or_b32_e32 v2, 8, v2
	s_waitcnt lgkmcnt(0)
	v_add_u32_e32 v1, v1, v4
	ds_bpermute_b32 v2, v2, v1
	s_waitcnt lgkmcnt(0)
	v_add_u32_e32 v3, v2, v1
.LBB37_4:
	s_or_b64 exec, exec, s[0:1]
	s_mov_b32 s7, 0
	v_cmp_eq_u32_e32 vcc, 0, v0
	s_and_saveexec_b64 s[0:1], vcc
	s_cbranch_execz .LBB37_6
; %bb.5:
	s_lshl_b64 s[0:1], s[6:7], 2
	s_add_u32 s0, s2, s0
	s_addc_u32 s1, s3, s1
	v_mov_b32_e32 v0, 0
	global_store_dword v0, v3, s[0:1]
.LBB37_6:
	s_endpgm
	.section	.rodata,"a",@progbits
	.p2align	6, 0x0
	.amdhsa_kernel _Z13reduce_kernelILj256ELN6hipcub20BlockReduceAlgorithmE0EiEvPT1_S3_
		.amdhsa_group_segment_fixed_size 16
		.amdhsa_private_segment_fixed_size 0
		.amdhsa_kernarg_size 16
		.amdhsa_user_sgpr_count 6
		.amdhsa_user_sgpr_private_segment_buffer 1
		.amdhsa_user_sgpr_dispatch_ptr 0
		.amdhsa_user_sgpr_queue_ptr 0
		.amdhsa_user_sgpr_kernarg_segment_ptr 1
		.amdhsa_user_sgpr_dispatch_id 0
		.amdhsa_user_sgpr_flat_scratch_init 0
		.amdhsa_user_sgpr_private_segment_size 0
		.amdhsa_uses_dynamic_stack 0
		.amdhsa_system_sgpr_private_segment_wavefront_offset 0
		.amdhsa_system_sgpr_workgroup_id_x 1
		.amdhsa_system_sgpr_workgroup_id_y 0
		.amdhsa_system_sgpr_workgroup_id_z 0
		.amdhsa_system_sgpr_workgroup_info 0
		.amdhsa_system_vgpr_workitem_id 0
		.amdhsa_next_free_vgpr 5
		.amdhsa_next_free_sgpr 8
		.amdhsa_reserve_vcc 1
		.amdhsa_reserve_flat_scratch 0
		.amdhsa_float_round_mode_32 0
		.amdhsa_float_round_mode_16_64 0
		.amdhsa_float_denorm_mode_32 3
		.amdhsa_float_denorm_mode_16_64 3
		.amdhsa_dx10_clamp 1
		.amdhsa_ieee_mode 1
		.amdhsa_fp16_overflow 0
		.amdhsa_exception_fp_ieee_invalid_op 0
		.amdhsa_exception_fp_denorm_src 0
		.amdhsa_exception_fp_ieee_div_zero 0
		.amdhsa_exception_fp_ieee_overflow 0
		.amdhsa_exception_fp_ieee_underflow 0
		.amdhsa_exception_fp_ieee_inexact 0
		.amdhsa_exception_int_div_zero 0
	.end_amdhsa_kernel
	.section	.text._Z13reduce_kernelILj256ELN6hipcub20BlockReduceAlgorithmE0EiEvPT1_S3_,"axG",@progbits,_Z13reduce_kernelILj256ELN6hipcub20BlockReduceAlgorithmE0EiEvPT1_S3_,comdat
.Lfunc_end37:
	.size	_Z13reduce_kernelILj256ELN6hipcub20BlockReduceAlgorithmE0EiEvPT1_S3_, .Lfunc_end37-_Z13reduce_kernelILj256ELN6hipcub20BlockReduceAlgorithmE0EiEvPT1_S3_
                                        ; -- End function
	.set _Z13reduce_kernelILj256ELN6hipcub20BlockReduceAlgorithmE0EiEvPT1_S3_.num_vgpr, 5
	.set _Z13reduce_kernelILj256ELN6hipcub20BlockReduceAlgorithmE0EiEvPT1_S3_.num_agpr, 0
	.set _Z13reduce_kernelILj256ELN6hipcub20BlockReduceAlgorithmE0EiEvPT1_S3_.numbered_sgpr, 8
	.set _Z13reduce_kernelILj256ELN6hipcub20BlockReduceAlgorithmE0EiEvPT1_S3_.num_named_barrier, 0
	.set _Z13reduce_kernelILj256ELN6hipcub20BlockReduceAlgorithmE0EiEvPT1_S3_.private_seg_size, 0
	.set _Z13reduce_kernelILj256ELN6hipcub20BlockReduceAlgorithmE0EiEvPT1_S3_.uses_vcc, 1
	.set _Z13reduce_kernelILj256ELN6hipcub20BlockReduceAlgorithmE0EiEvPT1_S3_.uses_flat_scratch, 0
	.set _Z13reduce_kernelILj256ELN6hipcub20BlockReduceAlgorithmE0EiEvPT1_S3_.has_dyn_sized_stack, 0
	.set _Z13reduce_kernelILj256ELN6hipcub20BlockReduceAlgorithmE0EiEvPT1_S3_.has_recursion, 0
	.set _Z13reduce_kernelILj256ELN6hipcub20BlockReduceAlgorithmE0EiEvPT1_S3_.has_indirect_call, 0
	.section	.AMDGPU.csdata,"",@progbits
; Kernel info:
; codeLenInByte = 356
; TotalNumSgprs: 12
; NumVgprs: 5
; ScratchSize: 0
; MemoryBound: 0
; FloatMode: 240
; IeeeMode: 1
; LDSByteSize: 16 bytes/workgroup (compile time only)
; SGPRBlocks: 1
; VGPRBlocks: 1
; NumSGPRsForWavesPerEU: 12
; NumVGPRsForWavesPerEU: 5
; Occupancy: 10
; WaveLimiterHint : 0
; COMPUTE_PGM_RSRC2:SCRATCH_EN: 0
; COMPUTE_PGM_RSRC2:USER_SGPR: 6
; COMPUTE_PGM_RSRC2:TRAP_HANDLER: 0
; COMPUTE_PGM_RSRC2:TGID_X_EN: 1
; COMPUTE_PGM_RSRC2:TGID_Y_EN: 0
; COMPUTE_PGM_RSRC2:TGID_Z_EN: 0
; COMPUTE_PGM_RSRC2:TIDIG_COMP_CNT: 0
	.section	.text._Z13reduce_kernelILj192ELN6hipcub20BlockReduceAlgorithmE0EiEvPT1_S3_,"axG",@progbits,_Z13reduce_kernelILj192ELN6hipcub20BlockReduceAlgorithmE0EiEvPT1_S3_,comdat
	.protected	_Z13reduce_kernelILj192ELN6hipcub20BlockReduceAlgorithmE0EiEvPT1_S3_ ; -- Begin function _Z13reduce_kernelILj192ELN6hipcub20BlockReduceAlgorithmE0EiEvPT1_S3_
	.globl	_Z13reduce_kernelILj192ELN6hipcub20BlockReduceAlgorithmE0EiEvPT1_S3_
	.p2align	8
	.type	_Z13reduce_kernelILj192ELN6hipcub20BlockReduceAlgorithmE0EiEvPT1_S3_,@function
_Z13reduce_kernelILj192ELN6hipcub20BlockReduceAlgorithmE0EiEvPT1_S3_: ; @_Z13reduce_kernelILj192ELN6hipcub20BlockReduceAlgorithmE0EiEvPT1_S3_
; %bb.0:
	s_load_dwordx4 s[0:3], s[4:5], 0x0
	s_mul_i32 s4, s6, 0xc0
	v_add_u32_e32 v1, s4, v0
	v_mov_b32_e32 v2, 0
	v_lshlrev_b64 v[1:2], 2, v[1:2]
	s_waitcnt lgkmcnt(0)
	v_mov_b32_e32 v3, s1
	v_add_co_u32_e32 v1, vcc, s0, v1
	v_addc_co_u32_e32 v2, vcc, v3, v2, vcc
	global_load_dword v3, v[1:2], off
	v_mbcnt_lo_u32_b32 v1, -1, 0
	v_mbcnt_hi_u32_b32 v1, -1, v1
	v_lshlrev_b32_e32 v2, 2, v1
	v_cmp_eq_u32_e32 vcc, 0, v1
	s_waitcnt vmcnt(0)
	v_mov_b32_dpp v4, v3 quad_perm:[1,0,3,2] row_mask:0xf bank_mask:0xf
	v_add_u32_e32 v3, v4, v3
	s_nop 1
	v_mov_b32_dpp v4, v3 quad_perm:[2,3,0,1] row_mask:0xf bank_mask:0xf
	v_add_u32_e32 v3, v3, v4
	s_nop 1
	v_mov_b32_dpp v4, v3 row_ror:4 row_mask:0xf bank_mask:0xf
	v_add_u32_e32 v3, v3, v4
	s_nop 1
	v_mov_b32_dpp v4, v3 row_ror:8 row_mask:0xf bank_mask:0xf
	v_add_u32_e32 v3, v3, v4
	s_nop 1
	v_mov_b32_dpp v4, v3 row_bcast:15 row_mask:0xf bank_mask:0xf
	v_add_u32_e32 v3, v3, v4
	s_nop 1
	v_mov_b32_dpp v4, v3 row_bcast:31 row_mask:0xf bank_mask:0xf
	v_add_u32_e32 v3, v3, v4
	v_or_b32_e32 v4, 0xfc, v2
	ds_bpermute_b32 v3, v4, v3
	s_and_saveexec_b64 s[0:1], vcc
	s_cbranch_execz .LBB38_2
; %bb.1:
	v_lshrrev_b32_e32 v4, 4, v0
	v_and_b32_e32 v4, 12, v4
	s_waitcnt lgkmcnt(0)
	ds_write_b32 v4, v3
.LBB38_2:
	s_or_b64 exec, exec, s[0:1]
	v_cmp_gt_u32_e32 vcc, 64, v0
	s_waitcnt lgkmcnt(0)
	s_barrier
	s_and_saveexec_b64 s[0:1], vcc
	s_cbranch_execz .LBB38_4
; %bb.3:
	s_mov_b32 s4, 0x55555556
	v_mul_hi_u32 v3, v1, s4
	v_and_b32_e32 v4, 3, v1
	v_cmp_ne_u32_e32 vcc, 3, v4
	v_or_b32_e32 v2, 8, v2
	v_mul_u32_u24_e32 v3, 3, v3
	v_sub_u32_e32 v3, v1, v3
	v_lshlrev_b32_e32 v3, 2, v3
	ds_read_b32 v3, v3
	v_addc_co_u32_e32 v1, vcc, 0, v1, vcc
	v_lshlrev_b32_e32 v1, 2, v1
	v_cmp_gt_u32_e32 vcc, 2, v4
	s_waitcnt lgkmcnt(0)
	ds_bpermute_b32 v1, v1, v3
	s_waitcnt lgkmcnt(0)
	v_cndmask_b32_e32 v1, 0, v1, vcc
	v_add_u32_e32 v1, v1, v3
	ds_bpermute_b32 v2, v2, v1
	v_cmp_eq_u32_e32 vcc, 0, v4
	s_waitcnt lgkmcnt(0)
	v_cndmask_b32_e32 v2, 0, v2, vcc
	v_add_u32_e32 v3, v1, v2
.LBB38_4:
	s_or_b64 exec, exec, s[0:1]
	s_mov_b32 s7, 0
	v_cmp_eq_u32_e32 vcc, 0, v0
	s_and_saveexec_b64 s[0:1], vcc
	s_cbranch_execz .LBB38_6
; %bb.5:
	s_lshl_b64 s[0:1], s[6:7], 2
	s_add_u32 s0, s2, s0
	s_addc_u32 s1, s3, s1
	v_mov_b32_e32 v0, 0
	global_store_dword v0, v3, s[0:1]
.LBB38_6:
	s_endpgm
	.section	.rodata,"a",@progbits
	.p2align	6, 0x0
	.amdhsa_kernel _Z13reduce_kernelILj192ELN6hipcub20BlockReduceAlgorithmE0EiEvPT1_S3_
		.amdhsa_group_segment_fixed_size 12
		.amdhsa_private_segment_fixed_size 0
		.amdhsa_kernarg_size 16
		.amdhsa_user_sgpr_count 6
		.amdhsa_user_sgpr_private_segment_buffer 1
		.amdhsa_user_sgpr_dispatch_ptr 0
		.amdhsa_user_sgpr_queue_ptr 0
		.amdhsa_user_sgpr_kernarg_segment_ptr 1
		.amdhsa_user_sgpr_dispatch_id 0
		.amdhsa_user_sgpr_flat_scratch_init 0
		.amdhsa_user_sgpr_private_segment_size 0
		.amdhsa_uses_dynamic_stack 0
		.amdhsa_system_sgpr_private_segment_wavefront_offset 0
		.amdhsa_system_sgpr_workgroup_id_x 1
		.amdhsa_system_sgpr_workgroup_id_y 0
		.amdhsa_system_sgpr_workgroup_id_z 0
		.amdhsa_system_sgpr_workgroup_info 0
		.amdhsa_system_vgpr_workitem_id 0
		.amdhsa_next_free_vgpr 5
		.amdhsa_next_free_sgpr 8
		.amdhsa_reserve_vcc 1
		.amdhsa_reserve_flat_scratch 0
		.amdhsa_float_round_mode_32 0
		.amdhsa_float_round_mode_16_64 0
		.amdhsa_float_denorm_mode_32 3
		.amdhsa_float_denorm_mode_16_64 3
		.amdhsa_dx10_clamp 1
		.amdhsa_ieee_mode 1
		.amdhsa_fp16_overflow 0
		.amdhsa_exception_fp_ieee_invalid_op 0
		.amdhsa_exception_fp_denorm_src 0
		.amdhsa_exception_fp_ieee_div_zero 0
		.amdhsa_exception_fp_ieee_overflow 0
		.amdhsa_exception_fp_ieee_underflow 0
		.amdhsa_exception_fp_ieee_inexact 0
		.amdhsa_exception_int_div_zero 0
	.end_amdhsa_kernel
	.section	.text._Z13reduce_kernelILj192ELN6hipcub20BlockReduceAlgorithmE0EiEvPT1_S3_,"axG",@progbits,_Z13reduce_kernelILj192ELN6hipcub20BlockReduceAlgorithmE0EiEvPT1_S3_,comdat
.Lfunc_end38:
	.size	_Z13reduce_kernelILj192ELN6hipcub20BlockReduceAlgorithmE0EiEvPT1_S3_, .Lfunc_end38-_Z13reduce_kernelILj192ELN6hipcub20BlockReduceAlgorithmE0EiEvPT1_S3_
                                        ; -- End function
	.set _Z13reduce_kernelILj192ELN6hipcub20BlockReduceAlgorithmE0EiEvPT1_S3_.num_vgpr, 5
	.set _Z13reduce_kernelILj192ELN6hipcub20BlockReduceAlgorithmE0EiEvPT1_S3_.num_agpr, 0
	.set _Z13reduce_kernelILj192ELN6hipcub20BlockReduceAlgorithmE0EiEvPT1_S3_.numbered_sgpr, 8
	.set _Z13reduce_kernelILj192ELN6hipcub20BlockReduceAlgorithmE0EiEvPT1_S3_.num_named_barrier, 0
	.set _Z13reduce_kernelILj192ELN6hipcub20BlockReduceAlgorithmE0EiEvPT1_S3_.private_seg_size, 0
	.set _Z13reduce_kernelILj192ELN6hipcub20BlockReduceAlgorithmE0EiEvPT1_S3_.uses_vcc, 1
	.set _Z13reduce_kernelILj192ELN6hipcub20BlockReduceAlgorithmE0EiEvPT1_S3_.uses_flat_scratch, 0
	.set _Z13reduce_kernelILj192ELN6hipcub20BlockReduceAlgorithmE0EiEvPT1_S3_.has_dyn_sized_stack, 0
	.set _Z13reduce_kernelILj192ELN6hipcub20BlockReduceAlgorithmE0EiEvPT1_S3_.has_recursion, 0
	.set _Z13reduce_kernelILj192ELN6hipcub20BlockReduceAlgorithmE0EiEvPT1_S3_.has_indirect_call, 0
	.section	.AMDGPU.csdata,"",@progbits
; Kernel info:
; codeLenInByte = 400
; TotalNumSgprs: 12
; NumVgprs: 5
; ScratchSize: 0
; MemoryBound: 0
; FloatMode: 240
; IeeeMode: 1
; LDSByteSize: 12 bytes/workgroup (compile time only)
; SGPRBlocks: 1
; VGPRBlocks: 1
; NumSGPRsForWavesPerEU: 12
; NumVGPRsForWavesPerEU: 5
; Occupancy: 10
; WaveLimiterHint : 0
; COMPUTE_PGM_RSRC2:SCRATCH_EN: 0
; COMPUTE_PGM_RSRC2:USER_SGPR: 6
; COMPUTE_PGM_RSRC2:TRAP_HANDLER: 0
; COMPUTE_PGM_RSRC2:TGID_X_EN: 1
; COMPUTE_PGM_RSRC2:TGID_Y_EN: 0
; COMPUTE_PGM_RSRC2:TGID_Z_EN: 0
; COMPUTE_PGM_RSRC2:TIDIG_COMP_CNT: 0
	.section	.text._Z13reduce_kernelILj128ELN6hipcub20BlockReduceAlgorithmE0EiEvPT1_S3_,"axG",@progbits,_Z13reduce_kernelILj128ELN6hipcub20BlockReduceAlgorithmE0EiEvPT1_S3_,comdat
	.protected	_Z13reduce_kernelILj128ELN6hipcub20BlockReduceAlgorithmE0EiEvPT1_S3_ ; -- Begin function _Z13reduce_kernelILj128ELN6hipcub20BlockReduceAlgorithmE0EiEvPT1_S3_
	.globl	_Z13reduce_kernelILj128ELN6hipcub20BlockReduceAlgorithmE0EiEvPT1_S3_
	.p2align	8
	.type	_Z13reduce_kernelILj128ELN6hipcub20BlockReduceAlgorithmE0EiEvPT1_S3_,@function
_Z13reduce_kernelILj128ELN6hipcub20BlockReduceAlgorithmE0EiEvPT1_S3_: ; @_Z13reduce_kernelILj128ELN6hipcub20BlockReduceAlgorithmE0EiEvPT1_S3_
; %bb.0:
	s_load_dwordx4 s[0:3], s[4:5], 0x0
	v_lshl_or_b32 v1, s6, 7, v0
	v_mov_b32_e32 v2, 0
	v_lshlrev_b64 v[1:2], 2, v[1:2]
	s_waitcnt lgkmcnt(0)
	v_mov_b32_e32 v3, s1
	v_add_co_u32_e32 v1, vcc, s0, v1
	v_addc_co_u32_e32 v2, vcc, v3, v2, vcc
	global_load_dword v2, v[1:2], off
	v_mbcnt_lo_u32_b32 v1, -1, 0
	v_mbcnt_hi_u32_b32 v1, -1, v1
	v_lshlrev_b32_e32 v3, 2, v1
	v_cmp_eq_u32_e32 vcc, 0, v1
	s_waitcnt vmcnt(0)
	v_mov_b32_dpp v4, v2 quad_perm:[1,0,3,2] row_mask:0xf bank_mask:0xf
	v_add_u32_e32 v2, v4, v2
	s_nop 1
	v_mov_b32_dpp v4, v2 quad_perm:[2,3,0,1] row_mask:0xf bank_mask:0xf
	v_add_u32_e32 v2, v2, v4
	s_nop 1
	v_mov_b32_dpp v4, v2 row_ror:4 row_mask:0xf bank_mask:0xf
	v_add_u32_e32 v2, v2, v4
	s_nop 1
	v_mov_b32_dpp v4, v2 row_ror:8 row_mask:0xf bank_mask:0xf
	v_add_u32_e32 v2, v2, v4
	s_nop 1
	v_mov_b32_dpp v4, v2 row_bcast:15 row_mask:0xf bank_mask:0xf
	v_add_u32_e32 v2, v2, v4
	s_nop 1
	v_mov_b32_dpp v4, v2 row_bcast:31 row_mask:0xf bank_mask:0xf
	v_add_u32_e32 v2, v2, v4
	v_or_b32_e32 v4, 0xfc, v3
	ds_bpermute_b32 v2, v4, v2
	s_and_saveexec_b64 s[0:1], vcc
	s_cbranch_execz .LBB39_2
; %bb.1:
	v_lshrrev_b32_e32 v4, 4, v0
	v_and_b32_e32 v4, 4, v4
	s_waitcnt lgkmcnt(0)
	ds_write_b32 v4, v2
.LBB39_2:
	s_or_b64 exec, exec, s[0:1]
	v_cmp_gt_u32_e32 vcc, 64, v0
	s_waitcnt lgkmcnt(0)
	s_barrier
	s_and_saveexec_b64 s[0:1], vcc
	s_cbranch_execz .LBB39_4
; %bb.3:
	v_and_b32_e32 v1, 1, v1
	v_lshlrev_b32_e32 v1, 2, v1
	ds_read_b32 v1, v1
	v_or_b32_e32 v2, 4, v3
	s_waitcnt lgkmcnt(0)
	ds_bpermute_b32 v2, v2, v1
	s_waitcnt lgkmcnt(0)
	v_add_u32_e32 v2, v2, v1
.LBB39_4:
	s_or_b64 exec, exec, s[0:1]
	s_mov_b32 s7, 0
	v_cmp_eq_u32_e32 vcc, 0, v0
	s_and_saveexec_b64 s[0:1], vcc
	s_cbranch_execz .LBB39_6
; %bb.5:
	s_lshl_b64 s[0:1], s[6:7], 2
	s_add_u32 s0, s2, s0
	s_addc_u32 s1, s3, s1
	v_mov_b32_e32 v0, 0
	global_store_dword v0, v2, s[0:1]
.LBB39_6:
	s_endpgm
	.section	.rodata,"a",@progbits
	.p2align	6, 0x0
	.amdhsa_kernel _Z13reduce_kernelILj128ELN6hipcub20BlockReduceAlgorithmE0EiEvPT1_S3_
		.amdhsa_group_segment_fixed_size 8
		.amdhsa_private_segment_fixed_size 0
		.amdhsa_kernarg_size 16
		.amdhsa_user_sgpr_count 6
		.amdhsa_user_sgpr_private_segment_buffer 1
		.amdhsa_user_sgpr_dispatch_ptr 0
		.amdhsa_user_sgpr_queue_ptr 0
		.amdhsa_user_sgpr_kernarg_segment_ptr 1
		.amdhsa_user_sgpr_dispatch_id 0
		.amdhsa_user_sgpr_flat_scratch_init 0
		.amdhsa_user_sgpr_private_segment_size 0
		.amdhsa_uses_dynamic_stack 0
		.amdhsa_system_sgpr_private_segment_wavefront_offset 0
		.amdhsa_system_sgpr_workgroup_id_x 1
		.amdhsa_system_sgpr_workgroup_id_y 0
		.amdhsa_system_sgpr_workgroup_id_z 0
		.amdhsa_system_sgpr_workgroup_info 0
		.amdhsa_system_vgpr_workitem_id 0
		.amdhsa_next_free_vgpr 5
		.amdhsa_next_free_sgpr 8
		.amdhsa_reserve_vcc 1
		.amdhsa_reserve_flat_scratch 0
		.amdhsa_float_round_mode_32 0
		.amdhsa_float_round_mode_16_64 0
		.amdhsa_float_denorm_mode_32 3
		.amdhsa_float_denorm_mode_16_64 3
		.amdhsa_dx10_clamp 1
		.amdhsa_ieee_mode 1
		.amdhsa_fp16_overflow 0
		.amdhsa_exception_fp_ieee_invalid_op 0
		.amdhsa_exception_fp_denorm_src 0
		.amdhsa_exception_fp_ieee_div_zero 0
		.amdhsa_exception_fp_ieee_overflow 0
		.amdhsa_exception_fp_ieee_underflow 0
		.amdhsa_exception_fp_ieee_inexact 0
		.amdhsa_exception_int_div_zero 0
	.end_amdhsa_kernel
	.section	.text._Z13reduce_kernelILj128ELN6hipcub20BlockReduceAlgorithmE0EiEvPT1_S3_,"axG",@progbits,_Z13reduce_kernelILj128ELN6hipcub20BlockReduceAlgorithmE0EiEvPT1_S3_,comdat
.Lfunc_end39:
	.size	_Z13reduce_kernelILj128ELN6hipcub20BlockReduceAlgorithmE0EiEvPT1_S3_, .Lfunc_end39-_Z13reduce_kernelILj128ELN6hipcub20BlockReduceAlgorithmE0EiEvPT1_S3_
                                        ; -- End function
	.set _Z13reduce_kernelILj128ELN6hipcub20BlockReduceAlgorithmE0EiEvPT1_S3_.num_vgpr, 5
	.set _Z13reduce_kernelILj128ELN6hipcub20BlockReduceAlgorithmE0EiEvPT1_S3_.num_agpr, 0
	.set _Z13reduce_kernelILj128ELN6hipcub20BlockReduceAlgorithmE0EiEvPT1_S3_.numbered_sgpr, 8
	.set _Z13reduce_kernelILj128ELN6hipcub20BlockReduceAlgorithmE0EiEvPT1_S3_.num_named_barrier, 0
	.set _Z13reduce_kernelILj128ELN6hipcub20BlockReduceAlgorithmE0EiEvPT1_S3_.private_seg_size, 0
	.set _Z13reduce_kernelILj128ELN6hipcub20BlockReduceAlgorithmE0EiEvPT1_S3_.uses_vcc, 1
	.set _Z13reduce_kernelILj128ELN6hipcub20BlockReduceAlgorithmE0EiEvPT1_S3_.uses_flat_scratch, 0
	.set _Z13reduce_kernelILj128ELN6hipcub20BlockReduceAlgorithmE0EiEvPT1_S3_.has_dyn_sized_stack, 0
	.set _Z13reduce_kernelILj128ELN6hipcub20BlockReduceAlgorithmE0EiEvPT1_S3_.has_recursion, 0
	.set _Z13reduce_kernelILj128ELN6hipcub20BlockReduceAlgorithmE0EiEvPT1_S3_.has_indirect_call, 0
	.section	.AMDGPU.csdata,"",@progbits
; Kernel info:
; codeLenInByte = 328
; TotalNumSgprs: 12
; NumVgprs: 5
; ScratchSize: 0
; MemoryBound: 0
; FloatMode: 240
; IeeeMode: 1
; LDSByteSize: 8 bytes/workgroup (compile time only)
; SGPRBlocks: 1
; VGPRBlocks: 1
; NumSGPRsForWavesPerEU: 12
; NumVGPRsForWavesPerEU: 5
; Occupancy: 10
; WaveLimiterHint : 0
; COMPUTE_PGM_RSRC2:SCRATCH_EN: 0
; COMPUTE_PGM_RSRC2:USER_SGPR: 6
; COMPUTE_PGM_RSRC2:TRAP_HANDLER: 0
; COMPUTE_PGM_RSRC2:TGID_X_EN: 1
; COMPUTE_PGM_RSRC2:TGID_Y_EN: 0
; COMPUTE_PGM_RSRC2:TGID_Z_EN: 0
; COMPUTE_PGM_RSRC2:TIDIG_COMP_CNT: 0
	.section	.text._Z13reduce_kernelILj64ELN6hipcub20BlockReduceAlgorithmE0EiEvPT1_S3_,"axG",@progbits,_Z13reduce_kernelILj64ELN6hipcub20BlockReduceAlgorithmE0EiEvPT1_S3_,comdat
	.protected	_Z13reduce_kernelILj64ELN6hipcub20BlockReduceAlgorithmE0EiEvPT1_S3_ ; -- Begin function _Z13reduce_kernelILj64ELN6hipcub20BlockReduceAlgorithmE0EiEvPT1_S3_
	.globl	_Z13reduce_kernelILj64ELN6hipcub20BlockReduceAlgorithmE0EiEvPT1_S3_
	.p2align	8
	.type	_Z13reduce_kernelILj64ELN6hipcub20BlockReduceAlgorithmE0EiEvPT1_S3_,@function
_Z13reduce_kernelILj64ELN6hipcub20BlockReduceAlgorithmE0EiEvPT1_S3_: ; @_Z13reduce_kernelILj64ELN6hipcub20BlockReduceAlgorithmE0EiEvPT1_S3_
; %bb.0:
	s_load_dwordx4 s[0:3], s[4:5], 0x0
	v_lshl_or_b32 v1, s6, 6, v0
	v_mov_b32_e32 v2, 0
	v_lshlrev_b64 v[3:4], 2, v[1:2]
	s_mov_b32 s7, 0
	s_waitcnt lgkmcnt(0)
	v_mov_b32_e32 v1, s1
	v_add_co_u32_e32 v3, vcc, s0, v3
	v_addc_co_u32_e32 v4, vcc, v1, v4, vcc
	global_load_dword v1, v[3:4], off
	v_mbcnt_lo_u32_b32 v3, -1, 0
	v_bfrev_b32_e32 v4, 0.5
	v_mbcnt_hi_u32_b32 v3, -1, v3
	v_lshl_or_b32 v3, v3, 2, v4
	v_cmp_eq_u32_e32 vcc, 0, v0
	s_waitcnt vmcnt(0)
	v_mov_b32_dpp v5, v1 quad_perm:[1,0,3,2] row_mask:0xf bank_mask:0xf
	v_add_u32_e32 v1, v5, v1
	s_nop 1
	v_mov_b32_dpp v5, v1 quad_perm:[2,3,0,1] row_mask:0xf bank_mask:0xf
	v_add_u32_e32 v1, v1, v5
	s_nop 1
	v_mov_b32_dpp v5, v1 row_ror:4 row_mask:0xf bank_mask:0xf
	v_add_u32_e32 v1, v1, v5
	s_nop 1
	v_mov_b32_dpp v5, v1 row_ror:8 row_mask:0xf bank_mask:0xf
	v_add_u32_e32 v1, v1, v5
	s_nop 1
	v_mov_b32_dpp v5, v1 row_bcast:15 row_mask:0xf bank_mask:0xf
	v_add_u32_e32 v1, v1, v5
	s_nop 1
	v_mov_b32_dpp v5, v1 row_bcast:31 row_mask:0xf bank_mask:0xf
	v_add_u32_e32 v1, v1, v5
	ds_bpermute_b32 v1, v3, v1
	s_and_saveexec_b64 s[0:1], vcc
	s_cbranch_execz .LBB40_2
; %bb.1:
	s_lshl_b64 s[0:1], s[6:7], 2
	s_add_u32 s0, s2, s0
	s_addc_u32 s1, s3, s1
	s_waitcnt lgkmcnt(0)
	global_store_dword v2, v1, s[0:1]
.LBB40_2:
	s_endpgm
	.section	.rodata,"a",@progbits
	.p2align	6, 0x0
	.amdhsa_kernel _Z13reduce_kernelILj64ELN6hipcub20BlockReduceAlgorithmE0EiEvPT1_S3_
		.amdhsa_group_segment_fixed_size 0
		.amdhsa_private_segment_fixed_size 0
		.amdhsa_kernarg_size 16
		.amdhsa_user_sgpr_count 6
		.amdhsa_user_sgpr_private_segment_buffer 1
		.amdhsa_user_sgpr_dispatch_ptr 0
		.amdhsa_user_sgpr_queue_ptr 0
		.amdhsa_user_sgpr_kernarg_segment_ptr 1
		.amdhsa_user_sgpr_dispatch_id 0
		.amdhsa_user_sgpr_flat_scratch_init 0
		.amdhsa_user_sgpr_private_segment_size 0
		.amdhsa_uses_dynamic_stack 0
		.amdhsa_system_sgpr_private_segment_wavefront_offset 0
		.amdhsa_system_sgpr_workgroup_id_x 1
		.amdhsa_system_sgpr_workgroup_id_y 0
		.amdhsa_system_sgpr_workgroup_id_z 0
		.amdhsa_system_sgpr_workgroup_info 0
		.amdhsa_system_vgpr_workitem_id 0
		.amdhsa_next_free_vgpr 6
		.amdhsa_next_free_sgpr 8
		.amdhsa_reserve_vcc 1
		.amdhsa_reserve_flat_scratch 0
		.amdhsa_float_round_mode_32 0
		.amdhsa_float_round_mode_16_64 0
		.amdhsa_float_denorm_mode_32 3
		.amdhsa_float_denorm_mode_16_64 3
		.amdhsa_dx10_clamp 1
		.amdhsa_ieee_mode 1
		.amdhsa_fp16_overflow 0
		.amdhsa_exception_fp_ieee_invalid_op 0
		.amdhsa_exception_fp_denorm_src 0
		.amdhsa_exception_fp_ieee_div_zero 0
		.amdhsa_exception_fp_ieee_overflow 0
		.amdhsa_exception_fp_ieee_underflow 0
		.amdhsa_exception_fp_ieee_inexact 0
		.amdhsa_exception_int_div_zero 0
	.end_amdhsa_kernel
	.section	.text._Z13reduce_kernelILj64ELN6hipcub20BlockReduceAlgorithmE0EiEvPT1_S3_,"axG",@progbits,_Z13reduce_kernelILj64ELN6hipcub20BlockReduceAlgorithmE0EiEvPT1_S3_,comdat
.Lfunc_end40:
	.size	_Z13reduce_kernelILj64ELN6hipcub20BlockReduceAlgorithmE0EiEvPT1_S3_, .Lfunc_end40-_Z13reduce_kernelILj64ELN6hipcub20BlockReduceAlgorithmE0EiEvPT1_S3_
                                        ; -- End function
	.set _Z13reduce_kernelILj64ELN6hipcub20BlockReduceAlgorithmE0EiEvPT1_S3_.num_vgpr, 6
	.set _Z13reduce_kernelILj64ELN6hipcub20BlockReduceAlgorithmE0EiEvPT1_S3_.num_agpr, 0
	.set _Z13reduce_kernelILj64ELN6hipcub20BlockReduceAlgorithmE0EiEvPT1_S3_.numbered_sgpr, 8
	.set _Z13reduce_kernelILj64ELN6hipcub20BlockReduceAlgorithmE0EiEvPT1_S3_.num_named_barrier, 0
	.set _Z13reduce_kernelILj64ELN6hipcub20BlockReduceAlgorithmE0EiEvPT1_S3_.private_seg_size, 0
	.set _Z13reduce_kernelILj64ELN6hipcub20BlockReduceAlgorithmE0EiEvPT1_S3_.uses_vcc, 1
	.set _Z13reduce_kernelILj64ELN6hipcub20BlockReduceAlgorithmE0EiEvPT1_S3_.uses_flat_scratch, 0
	.set _Z13reduce_kernelILj64ELN6hipcub20BlockReduceAlgorithmE0EiEvPT1_S3_.has_dyn_sized_stack, 0
	.set _Z13reduce_kernelILj64ELN6hipcub20BlockReduceAlgorithmE0EiEvPT1_S3_.has_recursion, 0
	.set _Z13reduce_kernelILj64ELN6hipcub20BlockReduceAlgorithmE0EiEvPT1_S3_.has_indirect_call, 0
	.section	.AMDGPU.csdata,"",@progbits
; Kernel info:
; codeLenInByte = 228
; TotalNumSgprs: 12
; NumVgprs: 6
; ScratchSize: 0
; MemoryBound: 0
; FloatMode: 240
; IeeeMode: 1
; LDSByteSize: 0 bytes/workgroup (compile time only)
; SGPRBlocks: 1
; VGPRBlocks: 1
; NumSGPRsForWavesPerEU: 12
; NumVGPRsForWavesPerEU: 6
; Occupancy: 10
; WaveLimiterHint : 0
; COMPUTE_PGM_RSRC2:SCRATCH_EN: 0
; COMPUTE_PGM_RSRC2:USER_SGPR: 6
; COMPUTE_PGM_RSRC2:TRAP_HANDLER: 0
; COMPUTE_PGM_RSRC2:TGID_X_EN: 1
; COMPUTE_PGM_RSRC2:TGID_Y_EN: 0
; COMPUTE_PGM_RSRC2:TGID_Z_EN: 0
; COMPUTE_PGM_RSRC2:TIDIG_COMP_CNT: 0
	.section	.text._Z19reduce_valid_kernelILj377ELN6hipcub20BlockReduceAlgorithmE2EhEvPT1_S3_j,"axG",@progbits,_Z19reduce_valid_kernelILj377ELN6hipcub20BlockReduceAlgorithmE2EhEvPT1_S3_j,comdat
	.protected	_Z19reduce_valid_kernelILj377ELN6hipcub20BlockReduceAlgorithmE2EhEvPT1_S3_j ; -- Begin function _Z19reduce_valid_kernelILj377ELN6hipcub20BlockReduceAlgorithmE2EhEvPT1_S3_j
	.globl	_Z19reduce_valid_kernelILj377ELN6hipcub20BlockReduceAlgorithmE2EhEvPT1_S3_j
	.p2align	8
	.type	_Z19reduce_valid_kernelILj377ELN6hipcub20BlockReduceAlgorithmE2EhEvPT1_S3_j,@function
_Z19reduce_valid_kernelILj377ELN6hipcub20BlockReduceAlgorithmE2EhEvPT1_S3_j: ; @_Z19reduce_valid_kernelILj377ELN6hipcub20BlockReduceAlgorithmE2EhEvPT1_S3_j
; %bb.0:
	s_load_dwordx4 s[8:11], s[4:5], 0x0
	s_load_dword s7, s[4:5], 0x10
	s_mul_i32 s0, s6, 0x179
	v_add_u32_e32 v1, s0, v0
	v_cmp_lt_u32_e32 vcc, 63, v0
	s_waitcnt lgkmcnt(0)
	global_load_ubyte v1, v1, s[8:9]
	v_cmp_gt_u32_e64 s[0:1], s7, v0
	s_and_b64 s[2:3], vcc, s[0:1]
	s_and_saveexec_b64 s[0:1], s[2:3]
	s_cbranch_execz .LBB41_2
; %bb.1:
	s_waitcnt vmcnt(0)
	ds_write_b8 v0, v1
.LBB41_2:
	s_or_b64 exec, exec, s[0:1]
	v_cmp_gt_u32_e32 vcc, 64, v0
	s_waitcnt vmcnt(0) lgkmcnt(0)
	s_barrier
	s_and_saveexec_b64 s[8:9], vcc
	s_cbranch_execnz .LBB41_5
; %bb.3:
	s_or_b64 exec, exec, s[8:9]
	v_cmp_eq_u32_e32 vcc, 0, v0
	s_and_saveexec_b64 s[0:1], vcc
	s_cbranch_execnz .LBB41_22
.LBB41_4:
	s_endpgm
.LBB41_5:
	v_or_b32_e32 v2, 64, v0
	v_cmp_gt_u32_e32 vcc, s7, v2
	s_and_saveexec_b64 s[0:1], vcc
	s_cbranch_execz .LBB41_21
; %bb.6:
	v_sub_u32_e32 v3, s7, v0
	v_add_u32_e32 v3, 0xffffffbf, v3
	s_movk_i32 s2, 0xbf
	v_cmp_lt_u32_e32 vcc, s2, v3
	s_mov_b64 s[4:5], -1
	s_and_saveexec_b64 s[2:3], vcc
	s_cbranch_execz .LBB41_16
; %bb.7:
	v_lshrrev_b32_e32 v3, 6, v3
	v_add_u32_e32 v5, -3, v3
	v_lshrrev_b32_e32 v6, 2, v5
	v_mov_b32_e32 v4, 0
	v_add_u32_e32 v7, 1, v6
	v_cmp_lt_u32_e32 vcc, 11, v5
	v_mov_b32_e32 v5, 0
	v_mov_b32_e32 v6, 0
	;; [unrolled: 1-line block ×3, first 2 shown]
	s_and_saveexec_b64 s[4:5], vcc
	s_cbranch_execz .LBB41_11
; %bb.8:
	v_and_b32_e32 v8, 0x7ffffffc, v7
	s_mov_b32 s14, 0
	s_mov_b64 s[12:13], 0
	v_mov_b32_e32 v9, v2
	v_mov_b32_e32 v5, 0
	;; [unrolled: 1-line block ×3, first 2 shown]
.LBB41_9:                               ; =>This Inner Loop Header: Depth=1
	ds_read_u8 v10, v9
	ds_read_u8 v11, v9 offset:64
	ds_read_u8 v12, v9 offset:128
	;; [unrolled: 1-line block ×3, first 2 shown]
	v_add_u32_e32 v8, -4, v8
	s_waitcnt lgkmcnt(3)
	v_add_u16_e32 v1, v10, v1
	s_waitcnt lgkmcnt(2)
	v_add_u16_e32 v4, v11, v4
	;; [unrolled: 2-line block ×4, first 2 shown]
	ds_read_u8 v10, v9 offset:256
	ds_read_u8 v11, v9 offset:320
	;; [unrolled: 1-line block ×4, first 2 shown]
	s_add_i32 s14, s14, 16
	s_waitcnt lgkmcnt(3)
	v_add_u16_e32 v1, v10, v1
	s_waitcnt lgkmcnt(2)
	v_add_u16_e32 v4, v11, v4
	;; [unrolled: 2-line block ×4, first 2 shown]
	ds_read_u8 v10, v9 offset:512
	ds_read_u8 v11, v9 offset:576
	;; [unrolled: 1-line block ×4, first 2 shown]
	v_cmp_eq_u32_e32 vcc, 0, v8
	s_waitcnt lgkmcnt(3)
	v_add_u16_e32 v1, v10, v1
	s_waitcnt lgkmcnt(2)
	v_add_u16_e32 v4, v11, v4
	s_waitcnt lgkmcnt(1)
	v_add_u16_e32 v5, v12, v5
	s_waitcnt lgkmcnt(0)
	v_add_u16_e32 v6, v13, v6
	ds_read_u8 v10, v9 offset:768
	ds_read_u8 v11, v9 offset:832
	;; [unrolled: 1-line block ×4, first 2 shown]
	v_add_u32_e32 v9, 0x400, v9
	s_waitcnt lgkmcnt(3)
	v_add_u16_e32 v1, v10, v1
	s_waitcnt lgkmcnt(2)
	v_add_u16_sdwa v4, v11, v4 dst_sel:BYTE_1 dst_unused:UNUSED_PAD src0_sel:DWORD src1_sel:DWORD
	s_waitcnt lgkmcnt(1)
	v_add_u16_e32 v5, v12, v5
	s_waitcnt lgkmcnt(0)
	v_add_u16_sdwa v6, v13, v6 dst_sel:BYTE_1 dst_unused:UNUSED_PAD src0_sel:DWORD src1_sel:DWORD
	v_or_b32_sdwa v5, v5, v6 dst_sel:DWORD dst_unused:UNUSED_PAD src0_sel:BYTE_0 src1_sel:DWORD
	v_lshlrev_b32_e32 v10, 16, v5
	v_or_b32_sdwa v1, v1, v4 dst_sel:DWORD dst_unused:UNUSED_PAD src0_sel:BYTE_0 src1_sel:DWORD
	v_or_b32_e32 v4, v4, v10
	v_lshrrev_b32_e32 v6, 24, v10
	v_lshrrev_b32_e32 v4, 8, v4
	s_or_b64 s[12:13], vcc, s[12:13]
	v_mov_b32_e32 v10, s14
	s_andn2_b64 exec, exec, s[12:13]
	s_cbranch_execnz .LBB41_9
; %bb.10:
	s_or_b64 exec, exec, s[12:13]
.LBB41_11:
	s_or_b64 exec, exec, s[4:5]
	v_and_b32_e32 v7, 3, v7
	v_cmp_ne_u32_e32 vcc, 0, v7
	s_and_saveexec_b64 s[4:5], vcc
	s_cbranch_execz .LBB41_15
; %bb.12:
	v_lshlrev_b32_e32 v8, 6, v10
	v_add3_u32 v8, v0, v8, 64
	s_mov_b64 s[12:13], 0
.LBB41_13:                              ; =>This Inner Loop Header: Depth=1
	ds_read_u8 v9, v8
	ds_read_u8 v10, v8 offset:64
	ds_read_u8 v11, v8 offset:128
	;; [unrolled: 1-line block ×3, first 2 shown]
	v_add_u32_e32 v7, -1, v7
	s_waitcnt lgkmcnt(3)
	v_add_u16_e32 v1, v9, v1
	s_waitcnt lgkmcnt(2)
	v_add_u16_sdwa v4, v10, v4 dst_sel:BYTE_1 dst_unused:UNUSED_PAD src0_sel:DWORD src1_sel:DWORD
	s_waitcnt lgkmcnt(1)
	v_add_u16_e32 v5, v11, v5
	s_waitcnt lgkmcnt(0)
	v_add_u16_sdwa v6, v12, v6 dst_sel:BYTE_1 dst_unused:UNUSED_PAD src0_sel:DWORD src1_sel:DWORD
	v_or_b32_sdwa v5, v5, v6 dst_sel:DWORD dst_unused:UNUSED_PAD src0_sel:BYTE_0 src1_sel:DWORD
	v_lshlrev_b32_e32 v9, 16, v5
	v_cmp_eq_u32_e32 vcc, 0, v7
	v_or_b32_sdwa v1, v1, v4 dst_sel:DWORD dst_unused:UNUSED_PAD src0_sel:BYTE_0 src1_sel:DWORD
	v_or_b32_e32 v4, v4, v9
	v_add_u32_e32 v8, 0x100, v8
	s_or_b64 s[12:13], vcc, s[12:13]
	v_lshrrev_b32_e32 v6, 24, v9
	v_lshrrev_b32_e32 v4, 8, v4
	s_andn2_b64 exec, exec, s[12:13]
	s_cbranch_execnz .LBB41_13
; %bb.14:
	s_or_b64 exec, exec, s[12:13]
.LBB41_15:
	s_or_b64 exec, exec, s[4:5]
	v_add_u32_e32 v3, 1, v3
	v_and_b32_e32 v7, 0x7fffffc, v3
	v_add_u16_e32 v1, v1, v5
	v_add_u16_sdwa v4, v4, v6 dst_sel:BYTE_1 dst_unused:UNUSED_PAD src0_sel:DWORD src1_sel:DWORD
	v_or_b32_sdwa v1, v1, v4 dst_sel:DWORD dst_unused:UNUSED_PAD src0_sel:BYTE_0 src1_sel:DWORD
	v_lshrrev_b32_e32 v4, 8, v4
	v_cmp_ne_u32_e32 vcc, v3, v7
	v_lshl_or_b32 v2, v7, 6, v2
	v_add_u16_e32 v1, v1, v4
	s_orn2_b64 s[4:5], vcc, exec
.LBB41_16:
	s_or_b64 exec, exec, s[2:3]
	s_and_saveexec_b64 s[2:3], s[4:5]
	s_cbranch_execz .LBB41_20
; %bb.17:
	s_mov_b64 s[4:5], 0
.LBB41_18:                              ; =>This Inner Loop Header: Depth=1
	ds_read_u8 v3, v2
	v_add_u32_e32 v2, 64, v2
	v_cmp_le_u32_e32 vcc, s7, v2
	s_or_b64 s[4:5], vcc, s[4:5]
	s_waitcnt lgkmcnt(0)
	v_add_u16_e32 v1, v3, v1
	s_andn2_b64 exec, exec, s[4:5]
	s_cbranch_execnz .LBB41_18
; %bb.19:
	s_or_b64 exec, exec, s[4:5]
.LBB41_20:
	s_or_b64 exec, exec, s[2:3]
.LBB41_21:
	s_or_b64 exec, exec, s[0:1]
	v_mbcnt_lo_u32_b32 v2, -1, 0
	v_mbcnt_hi_u32_b32 v2, -1, v2
	v_and_b32_e32 v3, 63, v2
	v_cmp_ne_u32_e32 vcc, 63, v3
	v_addc_co_u32_e32 v4, vcc, 0, v2, vcc
	v_lshlrev_b32_e32 v4, 2, v4
	v_and_b32_e32 v5, 0xff, v1
	ds_bpermute_b32 v4, v4, v5
	v_add_u32_e32 v6, 1, v2
	v_cmp_gt_u32_e64 s[0:1], 62, v3
	v_cmp_gt_u32_e32 vcc, s7, v6
	v_cndmask_b32_e64 v6, 0, 2, s[0:1]
	s_waitcnt lgkmcnt(0)
	v_add_u16_e32 v4, v1, v4
	v_and_b32_e32 v7, 0xff, v4
	v_cndmask_b32_e32 v5, v5, v7, vcc
	v_add_lshl_u32 v6, v6, v2, 2
	ds_bpermute_b32 v6, v6, v5
	v_cndmask_b32_e32 v4, v1, v4, vcc
	v_add_u32_e32 v7, 2, v2
	v_cmp_gt_u32_e64 s[2:3], 60, v3
	v_cmp_gt_u32_e64 s[0:1], s7, v7
	s_waitcnt lgkmcnt(0)
	v_add_u16_e32 v6, v4, v6
	v_and_b32_e32 v8, 0xff, v6
	v_cndmask_b32_e64 v7, 0, 4, s[2:3]
	v_cndmask_b32_e64 v5, v5, v8, s[0:1]
	v_add_lshl_u32 v7, v7, v2, 2
	ds_bpermute_b32 v7, v7, v5
	v_cndmask_b32_e64 v4, v4, v6, s[0:1]
	v_add_u32_e32 v6, 4, v2
	v_cmp_gt_u32_e64 s[4:5], 56, v3
	v_cmp_gt_u32_e64 s[2:3], s7, v6
	s_waitcnt lgkmcnt(0)
	v_add_u16_e32 v7, v4, v7
	v_and_b32_e32 v8, 0xff, v7
	v_cndmask_b32_e64 v6, 0, 8, s[4:5]
	v_cndmask_b32_e64 v5, v5, v8, s[2:3]
	v_add_lshl_u32 v6, v6, v2, 2
	ds_bpermute_b32 v6, v6, v5
	v_cndmask_b32_e64 v4, v4, v7, s[2:3]
	s_or_b64 s[4:5], vcc, s[0:1]
	v_add_u32_e32 v7, 8, v2
	v_cmp_gt_u32_e64 s[0:1], 48, v3
	s_waitcnt lgkmcnt(0)
	v_add_u16_e32 v6, v4, v6
	v_and_b32_e32 v8, 0xff, v6
	v_cmp_gt_u32_e32 vcc, s7, v7
	v_cndmask_b32_e64 v3, 0, 16, s[0:1]
	v_cndmask_b32_e32 v5, v5, v8, vcc
	v_add_lshl_u32 v3, v3, v2, 2
	ds_bpermute_b32 v3, v3, v5
	v_cndmask_b32_e32 v4, v4, v6, vcc
	s_or_b64 s[0:1], s[2:3], s[4:5]
	v_add_u32_e32 v6, 16, v2
	s_or_b64 s[0:1], vcc, s[0:1]
	s_waitcnt lgkmcnt(0)
	v_add_u16_e32 v3, v4, v3
	v_and_b32_e32 v7, 0xff, v3
	v_cmp_gt_u32_e32 vcc, s7, v6
	v_mov_b32_e32 v6, 0x80
	v_cndmask_b32_e32 v5, v5, v7, vcc
	v_lshl_or_b32 v6, v2, 2, v6
	ds_bpermute_b32 v5, v6, v5
	v_add_u32_e32 v2, 32, v2
	s_or_b64 s[0:1], vcc, s[0:1]
	v_cndmask_b32_e32 v3, v4, v3, vcc
	v_cmp_gt_u32_e32 vcc, s7, v2
	s_waitcnt lgkmcnt(0)
	v_cndmask_b32_e32 v2, 0, v5, vcc
	v_add_u16_e32 v2, v3, v2
	s_or_b64 vcc, vcc, s[0:1]
	v_cndmask_b32_e32 v1, v1, v2, vcc
	s_or_b64 exec, exec, s[8:9]
	v_cmp_eq_u32_e32 vcc, 0, v0
	s_and_saveexec_b64 s[0:1], vcc
	s_cbranch_execz .LBB41_4
.LBB41_22:
	v_mov_b32_e32 v0, s6
	global_store_byte v0, v1, s[10:11]
	s_endpgm
	.section	.rodata,"a",@progbits
	.p2align	6, 0x0
	.amdhsa_kernel _Z19reduce_valid_kernelILj377ELN6hipcub20BlockReduceAlgorithmE2EhEvPT1_S3_j
		.amdhsa_group_segment_fixed_size 377
		.amdhsa_private_segment_fixed_size 0
		.amdhsa_kernarg_size 20
		.amdhsa_user_sgpr_count 6
		.amdhsa_user_sgpr_private_segment_buffer 1
		.amdhsa_user_sgpr_dispatch_ptr 0
		.amdhsa_user_sgpr_queue_ptr 0
		.amdhsa_user_sgpr_kernarg_segment_ptr 1
		.amdhsa_user_sgpr_dispatch_id 0
		.amdhsa_user_sgpr_flat_scratch_init 0
		.amdhsa_user_sgpr_private_segment_size 0
		.amdhsa_uses_dynamic_stack 0
		.amdhsa_system_sgpr_private_segment_wavefront_offset 0
		.amdhsa_system_sgpr_workgroup_id_x 1
		.amdhsa_system_sgpr_workgroup_id_y 0
		.amdhsa_system_sgpr_workgroup_id_z 0
		.amdhsa_system_sgpr_workgroup_info 0
		.amdhsa_system_vgpr_workitem_id 0
		.amdhsa_next_free_vgpr 14
		.amdhsa_next_free_sgpr 15
		.amdhsa_reserve_vcc 1
		.amdhsa_reserve_flat_scratch 0
		.amdhsa_float_round_mode_32 0
		.amdhsa_float_round_mode_16_64 0
		.amdhsa_float_denorm_mode_32 3
		.amdhsa_float_denorm_mode_16_64 3
		.amdhsa_dx10_clamp 1
		.amdhsa_ieee_mode 1
		.amdhsa_fp16_overflow 0
		.amdhsa_exception_fp_ieee_invalid_op 0
		.amdhsa_exception_fp_denorm_src 0
		.amdhsa_exception_fp_ieee_div_zero 0
		.amdhsa_exception_fp_ieee_overflow 0
		.amdhsa_exception_fp_ieee_underflow 0
		.amdhsa_exception_fp_ieee_inexact 0
		.amdhsa_exception_int_div_zero 0
	.end_amdhsa_kernel
	.section	.text._Z19reduce_valid_kernelILj377ELN6hipcub20BlockReduceAlgorithmE2EhEvPT1_S3_j,"axG",@progbits,_Z19reduce_valid_kernelILj377ELN6hipcub20BlockReduceAlgorithmE2EhEvPT1_S3_j,comdat
.Lfunc_end41:
	.size	_Z19reduce_valid_kernelILj377ELN6hipcub20BlockReduceAlgorithmE2EhEvPT1_S3_j, .Lfunc_end41-_Z19reduce_valid_kernelILj377ELN6hipcub20BlockReduceAlgorithmE2EhEvPT1_S3_j
                                        ; -- End function
	.set _Z19reduce_valid_kernelILj377ELN6hipcub20BlockReduceAlgorithmE2EhEvPT1_S3_j.num_vgpr, 14
	.set _Z19reduce_valid_kernelILj377ELN6hipcub20BlockReduceAlgorithmE2EhEvPT1_S3_j.num_agpr, 0
	.set _Z19reduce_valid_kernelILj377ELN6hipcub20BlockReduceAlgorithmE2EhEvPT1_S3_j.numbered_sgpr, 15
	.set _Z19reduce_valid_kernelILj377ELN6hipcub20BlockReduceAlgorithmE2EhEvPT1_S3_j.num_named_barrier, 0
	.set _Z19reduce_valid_kernelILj377ELN6hipcub20BlockReduceAlgorithmE2EhEvPT1_S3_j.private_seg_size, 0
	.set _Z19reduce_valid_kernelILj377ELN6hipcub20BlockReduceAlgorithmE2EhEvPT1_S3_j.uses_vcc, 1
	.set _Z19reduce_valid_kernelILj377ELN6hipcub20BlockReduceAlgorithmE2EhEvPT1_S3_j.uses_flat_scratch, 0
	.set _Z19reduce_valid_kernelILj377ELN6hipcub20BlockReduceAlgorithmE2EhEvPT1_S3_j.has_dyn_sized_stack, 0
	.set _Z19reduce_valid_kernelILj377ELN6hipcub20BlockReduceAlgorithmE2EhEvPT1_S3_j.has_recursion, 0
	.set _Z19reduce_valid_kernelILj377ELN6hipcub20BlockReduceAlgorithmE2EhEvPT1_S3_j.has_indirect_call, 0
	.section	.AMDGPU.csdata,"",@progbits
; Kernel info:
; codeLenInByte = 1332
; TotalNumSgprs: 19
; NumVgprs: 14
; ScratchSize: 0
; MemoryBound: 0
; FloatMode: 240
; IeeeMode: 1
; LDSByteSize: 377 bytes/workgroup (compile time only)
; SGPRBlocks: 2
; VGPRBlocks: 3
; NumSGPRsForWavesPerEU: 19
; NumVGPRsForWavesPerEU: 14
; Occupancy: 10
; WaveLimiterHint : 0
; COMPUTE_PGM_RSRC2:SCRATCH_EN: 0
; COMPUTE_PGM_RSRC2:USER_SGPR: 6
; COMPUTE_PGM_RSRC2:TRAP_HANDLER: 0
; COMPUTE_PGM_RSRC2:TGID_X_EN: 1
; COMPUTE_PGM_RSRC2:TGID_Y_EN: 0
; COMPUTE_PGM_RSRC2:TGID_Z_EN: 0
; COMPUTE_PGM_RSRC2:TIDIG_COMP_CNT: 0
	.section	.text._Z19reduce_valid_kernelILj377ELN6hipcub20BlockReduceAlgorithmE2EiEvPT1_S3_j,"axG",@progbits,_Z19reduce_valid_kernelILj377ELN6hipcub20BlockReduceAlgorithmE2EiEvPT1_S3_j,comdat
	.protected	_Z19reduce_valid_kernelILj377ELN6hipcub20BlockReduceAlgorithmE2EiEvPT1_S3_j ; -- Begin function _Z19reduce_valid_kernelILj377ELN6hipcub20BlockReduceAlgorithmE2EiEvPT1_S3_j
	.globl	_Z19reduce_valid_kernelILj377ELN6hipcub20BlockReduceAlgorithmE2EiEvPT1_S3_j
	.p2align	8
	.type	_Z19reduce_valid_kernelILj377ELN6hipcub20BlockReduceAlgorithmE2EiEvPT1_S3_j,@function
_Z19reduce_valid_kernelILj377ELN6hipcub20BlockReduceAlgorithmE2EiEvPT1_S3_j: ; @_Z19reduce_valid_kernelILj377ELN6hipcub20BlockReduceAlgorithmE2EiEvPT1_S3_j
; %bb.0:
	s_load_dwordx4 s[0:3], s[4:5], 0x0
	s_load_dword s7, s[4:5], 0x10
	s_mul_i32 s4, s6, 0x179
	v_add_u32_e32 v1, s4, v0
	v_mov_b32_e32 v2, 0
	v_lshlrev_b64 v[1:2], 2, v[1:2]
	s_waitcnt lgkmcnt(0)
	v_mov_b32_e32 v3, s1
	v_add_co_u32_e32 v1, vcc, s0, v1
	v_addc_co_u32_e32 v2, vcc, v3, v2, vcc
	global_load_dword v1, v[1:2], off
	v_cmp_lt_u32_e32 vcc, 63, v0
	v_cmp_gt_u32_e64 s[0:1], s7, v0
	s_and_b64 s[4:5], vcc, s[0:1]
	s_and_saveexec_b64 s[0:1], s[4:5]
	s_cbranch_execz .LBB42_2
; %bb.1:
	v_lshlrev_b32_e32 v2, 2, v0
	s_waitcnt vmcnt(0)
	ds_write_b32 v2, v1
.LBB42_2:
	s_or_b64 exec, exec, s[0:1]
	v_cmp_gt_u32_e32 vcc, 64, v0
	s_waitcnt vmcnt(0) lgkmcnt(0)
	s_barrier
	s_and_saveexec_b64 s[0:1], vcc
	s_cbranch_execz .LBB42_8
; %bb.3:
	v_or_b32_e32 v2, 64, v0
	v_cmp_gt_u32_e32 vcc, s7, v2
	s_and_saveexec_b64 s[4:5], vcc
	s_cbranch_execz .LBB42_7
; %bb.4:
	v_mov_b32_e32 v3, 0x100
	v_lshl_add_u32 v3, v0, 2, v3
	s_mov_b64 s[8:9], 0
.LBB42_5:                               ; =>This Inner Loop Header: Depth=1
	ds_read_b32 v4, v3
	v_add_u32_e32 v2, 64, v2
	v_cmp_le_u32_e32 vcc, s7, v2
	v_add_u32_e32 v3, 0x100, v3
	s_or_b64 s[8:9], vcc, s[8:9]
	s_waitcnt lgkmcnt(0)
	v_add_u32_e32 v1, v4, v1
	s_andn2_b64 exec, exec, s[8:9]
	s_cbranch_execnz .LBB42_5
; %bb.6:
	s_or_b64 exec, exec, s[8:9]
.LBB42_7:
	s_or_b64 exec, exec, s[4:5]
	v_mbcnt_lo_u32_b32 v2, -1, 0
	v_mbcnt_hi_u32_b32 v2, -1, v2
	v_and_b32_e32 v3, 63, v2
	v_cmp_ne_u32_e32 vcc, 63, v3
	v_addc_co_u32_e32 v4, vcc, 0, v2, vcc
	v_lshlrev_b32_e32 v4, 2, v4
	ds_bpermute_b32 v4, v4, v1
	v_add_u32_e32 v5, 1, v2
	v_cmp_gt_u32_e32 vcc, s7, v5
	v_add_u32_e32 v5, 2, v2
	s_waitcnt lgkmcnt(0)
	v_cndmask_b32_e32 v4, 0, v4, vcc
	v_cmp_gt_u32_e32 vcc, 62, v3
	v_add_u32_e32 v1, v4, v1
	v_cndmask_b32_e64 v4, 0, 2, vcc
	v_add_lshl_u32 v4, v4, v2, 2
	ds_bpermute_b32 v4, v4, v1
	v_cmp_gt_u32_e32 vcc, s7, v5
	v_add_u32_e32 v5, 4, v2
	s_waitcnt lgkmcnt(0)
	v_cndmask_b32_e32 v4, 0, v4, vcc
	v_cmp_gt_u32_e32 vcc, 60, v3
	v_add_u32_e32 v1, v1, v4
	v_cndmask_b32_e64 v4, 0, 4, vcc
	v_add_lshl_u32 v4, v4, v2, 2
	ds_bpermute_b32 v4, v4, v1
	;; [unrolled: 9-line block ×3, first 2 shown]
	v_cmp_gt_u32_e32 vcc, s7, v5
	s_waitcnt lgkmcnt(0)
	v_cndmask_b32_e32 v4, 0, v4, vcc
	v_cmp_gt_u32_e32 vcc, 48, v3
	v_cndmask_b32_e64 v3, 0, 16, vcc
	v_add_u32_e32 v1, v1, v4
	v_add_lshl_u32 v3, v3, v2, 2
	ds_bpermute_b32 v3, v3, v1
	v_add_u32_e32 v4, 16, v2
	v_cmp_gt_u32_e32 vcc, s7, v4
	s_waitcnt lgkmcnt(0)
	v_cndmask_b32_e32 v3, 0, v3, vcc
	v_add_u32_e32 v1, v1, v3
	v_mov_b32_e32 v3, 0x80
	v_lshl_or_b32 v3, v2, 2, v3
	ds_bpermute_b32 v3, v3, v1
	v_add_u32_e32 v2, 32, v2
	v_cmp_gt_u32_e32 vcc, s7, v2
	s_waitcnt lgkmcnt(0)
	v_cndmask_b32_e32 v2, 0, v3, vcc
	v_add_u32_e32 v1, v1, v2
.LBB42_8:
	s_or_b64 exec, exec, s[0:1]
	s_mov_b32 s7, 0
	v_cmp_eq_u32_e32 vcc, 0, v0
	s_and_saveexec_b64 s[0:1], vcc
	s_cbranch_execz .LBB42_10
; %bb.9:
	s_lshl_b64 s[0:1], s[6:7], 2
	s_add_u32 s0, s2, s0
	s_addc_u32 s1, s3, s1
	v_mov_b32_e32 v0, 0
	global_store_dword v0, v1, s[0:1]
.LBB42_10:
	s_endpgm
	.section	.rodata,"a",@progbits
	.p2align	6, 0x0
	.amdhsa_kernel _Z19reduce_valid_kernelILj377ELN6hipcub20BlockReduceAlgorithmE2EiEvPT1_S3_j
		.amdhsa_group_segment_fixed_size 1508
		.amdhsa_private_segment_fixed_size 0
		.amdhsa_kernarg_size 20
		.amdhsa_user_sgpr_count 6
		.amdhsa_user_sgpr_private_segment_buffer 1
		.amdhsa_user_sgpr_dispatch_ptr 0
		.amdhsa_user_sgpr_queue_ptr 0
		.amdhsa_user_sgpr_kernarg_segment_ptr 1
		.amdhsa_user_sgpr_dispatch_id 0
		.amdhsa_user_sgpr_flat_scratch_init 0
		.amdhsa_user_sgpr_private_segment_size 0
		.amdhsa_uses_dynamic_stack 0
		.amdhsa_system_sgpr_private_segment_wavefront_offset 0
		.amdhsa_system_sgpr_workgroup_id_x 1
		.amdhsa_system_sgpr_workgroup_id_y 0
		.amdhsa_system_sgpr_workgroup_id_z 0
		.amdhsa_system_sgpr_workgroup_info 0
		.amdhsa_system_vgpr_workitem_id 0
		.amdhsa_next_free_vgpr 6
		.amdhsa_next_free_sgpr 10
		.amdhsa_reserve_vcc 1
		.amdhsa_reserve_flat_scratch 0
		.amdhsa_float_round_mode_32 0
		.amdhsa_float_round_mode_16_64 0
		.amdhsa_float_denorm_mode_32 3
		.amdhsa_float_denorm_mode_16_64 3
		.amdhsa_dx10_clamp 1
		.amdhsa_ieee_mode 1
		.amdhsa_fp16_overflow 0
		.amdhsa_exception_fp_ieee_invalid_op 0
		.amdhsa_exception_fp_denorm_src 0
		.amdhsa_exception_fp_ieee_div_zero 0
		.amdhsa_exception_fp_ieee_overflow 0
		.amdhsa_exception_fp_ieee_underflow 0
		.amdhsa_exception_fp_ieee_inexact 0
		.amdhsa_exception_int_div_zero 0
	.end_amdhsa_kernel
	.section	.text._Z19reduce_valid_kernelILj377ELN6hipcub20BlockReduceAlgorithmE2EiEvPT1_S3_j,"axG",@progbits,_Z19reduce_valid_kernelILj377ELN6hipcub20BlockReduceAlgorithmE2EiEvPT1_S3_j,comdat
.Lfunc_end42:
	.size	_Z19reduce_valid_kernelILj377ELN6hipcub20BlockReduceAlgorithmE2EiEvPT1_S3_j, .Lfunc_end42-_Z19reduce_valid_kernelILj377ELN6hipcub20BlockReduceAlgorithmE2EiEvPT1_S3_j
                                        ; -- End function
	.set _Z19reduce_valid_kernelILj377ELN6hipcub20BlockReduceAlgorithmE2EiEvPT1_S3_j.num_vgpr, 6
	.set _Z19reduce_valid_kernelILj377ELN6hipcub20BlockReduceAlgorithmE2EiEvPT1_S3_j.num_agpr, 0
	.set _Z19reduce_valid_kernelILj377ELN6hipcub20BlockReduceAlgorithmE2EiEvPT1_S3_j.numbered_sgpr, 10
	.set _Z19reduce_valid_kernelILj377ELN6hipcub20BlockReduceAlgorithmE2EiEvPT1_S3_j.num_named_barrier, 0
	.set _Z19reduce_valid_kernelILj377ELN6hipcub20BlockReduceAlgorithmE2EiEvPT1_S3_j.private_seg_size, 0
	.set _Z19reduce_valid_kernelILj377ELN6hipcub20BlockReduceAlgorithmE2EiEvPT1_S3_j.uses_vcc, 1
	.set _Z19reduce_valid_kernelILj377ELN6hipcub20BlockReduceAlgorithmE2EiEvPT1_S3_j.uses_flat_scratch, 0
	.set _Z19reduce_valid_kernelILj377ELN6hipcub20BlockReduceAlgorithmE2EiEvPT1_S3_j.has_dyn_sized_stack, 0
	.set _Z19reduce_valid_kernelILj377ELN6hipcub20BlockReduceAlgorithmE2EiEvPT1_S3_j.has_recursion, 0
	.set _Z19reduce_valid_kernelILj377ELN6hipcub20BlockReduceAlgorithmE2EiEvPT1_S3_j.has_indirect_call, 0
	.section	.AMDGPU.csdata,"",@progbits
; Kernel info:
; codeLenInByte = 560
; TotalNumSgprs: 14
; NumVgprs: 6
; ScratchSize: 0
; MemoryBound: 0
; FloatMode: 240
; IeeeMode: 1
; LDSByteSize: 1508 bytes/workgroup (compile time only)
; SGPRBlocks: 1
; VGPRBlocks: 1
; NumSGPRsForWavesPerEU: 14
; NumVGPRsForWavesPerEU: 6
; Occupancy: 10
; WaveLimiterHint : 0
; COMPUTE_PGM_RSRC2:SCRATCH_EN: 0
; COMPUTE_PGM_RSRC2:USER_SGPR: 6
; COMPUTE_PGM_RSRC2:TRAP_HANDLER: 0
; COMPUTE_PGM_RSRC2:TGID_X_EN: 1
; COMPUTE_PGM_RSRC2:TGID_Y_EN: 0
; COMPUTE_PGM_RSRC2:TGID_Z_EN: 0
; COMPUTE_PGM_RSRC2:TIDIG_COMP_CNT: 0
	.section	.text._Z19reduce_valid_kernelILj255ELN6hipcub20BlockReduceAlgorithmE2EjEvPT1_S3_j,"axG",@progbits,_Z19reduce_valid_kernelILj255ELN6hipcub20BlockReduceAlgorithmE2EjEvPT1_S3_j,comdat
	.protected	_Z19reduce_valid_kernelILj255ELN6hipcub20BlockReduceAlgorithmE2EjEvPT1_S3_j ; -- Begin function _Z19reduce_valid_kernelILj255ELN6hipcub20BlockReduceAlgorithmE2EjEvPT1_S3_j
	.globl	_Z19reduce_valid_kernelILj255ELN6hipcub20BlockReduceAlgorithmE2EjEvPT1_S3_j
	.p2align	8
	.type	_Z19reduce_valid_kernelILj255ELN6hipcub20BlockReduceAlgorithmE2EjEvPT1_S3_j,@function
_Z19reduce_valid_kernelILj255ELN6hipcub20BlockReduceAlgorithmE2EjEvPT1_S3_j: ; @_Z19reduce_valid_kernelILj255ELN6hipcub20BlockReduceAlgorithmE2EjEvPT1_S3_j
; %bb.0:
	s_load_dwordx4 s[0:3], s[4:5], 0x0
	s_load_dword s7, s[4:5], 0x10
	s_mul_i32 s4, s6, 0xff
	v_add_u32_e32 v1, s4, v0
	v_mov_b32_e32 v2, 0
	v_lshlrev_b64 v[1:2], 2, v[1:2]
	s_waitcnt lgkmcnt(0)
	v_mov_b32_e32 v3, s1
	v_add_co_u32_e32 v1, vcc, s0, v1
	v_addc_co_u32_e32 v2, vcc, v3, v2, vcc
	global_load_dword v1, v[1:2], off
	v_cmp_lt_u32_e32 vcc, 63, v0
	v_cmp_gt_u32_e64 s[0:1], s7, v0
	s_and_b64 s[4:5], vcc, s[0:1]
	s_and_saveexec_b64 s[0:1], s[4:5]
	s_cbranch_execz .LBB43_2
; %bb.1:
	v_lshlrev_b32_e32 v2, 2, v0
	s_waitcnt vmcnt(0)
	ds_write_b32 v2, v1
.LBB43_2:
	s_or_b64 exec, exec, s[0:1]
	v_cmp_gt_u32_e32 vcc, 64, v0
	s_waitcnt vmcnt(0) lgkmcnt(0)
	s_barrier
	s_and_saveexec_b64 s[0:1], vcc
	s_cbranch_execz .LBB43_8
; %bb.3:
	v_or_b32_e32 v2, 64, v0
	v_cmp_gt_u32_e32 vcc, s7, v2
	s_and_saveexec_b64 s[4:5], vcc
	s_cbranch_execz .LBB43_7
; %bb.4:
	v_mov_b32_e32 v3, 0x100
	v_lshl_add_u32 v3, v0, 2, v3
	s_mov_b64 s[8:9], 0
.LBB43_5:                               ; =>This Inner Loop Header: Depth=1
	ds_read_b32 v4, v3
	v_add_u32_e32 v2, 64, v2
	v_cmp_le_u32_e32 vcc, s7, v2
	v_add_u32_e32 v3, 0x100, v3
	s_or_b64 s[8:9], vcc, s[8:9]
	s_waitcnt lgkmcnt(0)
	v_add_u32_e32 v1, v4, v1
	s_andn2_b64 exec, exec, s[8:9]
	s_cbranch_execnz .LBB43_5
; %bb.6:
	s_or_b64 exec, exec, s[8:9]
.LBB43_7:
	s_or_b64 exec, exec, s[4:5]
	v_mbcnt_lo_u32_b32 v2, -1, 0
	v_mbcnt_hi_u32_b32 v2, -1, v2
	v_and_b32_e32 v3, 63, v2
	v_cmp_ne_u32_e32 vcc, 63, v3
	v_addc_co_u32_e32 v4, vcc, 0, v2, vcc
	v_lshlrev_b32_e32 v4, 2, v4
	ds_bpermute_b32 v4, v4, v1
	v_add_u32_e32 v5, 1, v2
	v_cmp_gt_u32_e32 vcc, s7, v5
	v_add_u32_e32 v5, 2, v2
	s_waitcnt lgkmcnt(0)
	v_cndmask_b32_e32 v4, 0, v4, vcc
	v_cmp_gt_u32_e32 vcc, 62, v3
	v_add_u32_e32 v1, v4, v1
	v_cndmask_b32_e64 v4, 0, 2, vcc
	v_add_lshl_u32 v4, v4, v2, 2
	ds_bpermute_b32 v4, v4, v1
	v_cmp_gt_u32_e32 vcc, s7, v5
	v_add_u32_e32 v5, 4, v2
	s_waitcnt lgkmcnt(0)
	v_cndmask_b32_e32 v4, 0, v4, vcc
	v_cmp_gt_u32_e32 vcc, 60, v3
	v_add_u32_e32 v1, v1, v4
	v_cndmask_b32_e64 v4, 0, 4, vcc
	v_add_lshl_u32 v4, v4, v2, 2
	ds_bpermute_b32 v4, v4, v1
	v_cmp_gt_u32_e32 vcc, s7, v5
	v_add_u32_e32 v5, 8, v2
	s_waitcnt lgkmcnt(0)
	v_cndmask_b32_e32 v4, 0, v4, vcc
	v_cmp_gt_u32_e32 vcc, 56, v3
	v_add_u32_e32 v1, v1, v4
	v_cndmask_b32_e64 v4, 0, 8, vcc
	v_add_lshl_u32 v4, v4, v2, 2
	ds_bpermute_b32 v4, v4, v1
	v_cmp_gt_u32_e32 vcc, s7, v5
	s_waitcnt lgkmcnt(0)
	v_cndmask_b32_e32 v4, 0, v4, vcc
	v_cmp_gt_u32_e32 vcc, 48, v3
	v_cndmask_b32_e64 v3, 0, 16, vcc
	v_add_u32_e32 v1, v1, v4
	v_add_lshl_u32 v3, v3, v2, 2
	ds_bpermute_b32 v3, v3, v1
	v_add_u32_e32 v4, 16, v2
	v_cmp_gt_u32_e32 vcc, s7, v4
	s_waitcnt lgkmcnt(0)
	v_cndmask_b32_e32 v3, 0, v3, vcc
	v_add_u32_e32 v1, v1, v3
	v_mov_b32_e32 v3, 0x80
	v_lshl_or_b32 v3, v2, 2, v3
	ds_bpermute_b32 v3, v3, v1
	v_add_u32_e32 v2, 32, v2
	v_cmp_gt_u32_e32 vcc, s7, v2
	s_waitcnt lgkmcnt(0)
	v_cndmask_b32_e32 v2, 0, v3, vcc
	v_add_u32_e32 v1, v1, v2
.LBB43_8:
	s_or_b64 exec, exec, s[0:1]
	s_mov_b32 s7, 0
	v_cmp_eq_u32_e32 vcc, 0, v0
	s_and_saveexec_b64 s[0:1], vcc
	s_cbranch_execz .LBB43_10
; %bb.9:
	s_lshl_b64 s[0:1], s[6:7], 2
	s_add_u32 s0, s2, s0
	s_addc_u32 s1, s3, s1
	v_mov_b32_e32 v0, 0
	global_store_dword v0, v1, s[0:1]
.LBB43_10:
	s_endpgm
	.section	.rodata,"a",@progbits
	.p2align	6, 0x0
	.amdhsa_kernel _Z19reduce_valid_kernelILj255ELN6hipcub20BlockReduceAlgorithmE2EjEvPT1_S3_j
		.amdhsa_group_segment_fixed_size 1020
		.amdhsa_private_segment_fixed_size 0
		.amdhsa_kernarg_size 20
		.amdhsa_user_sgpr_count 6
		.amdhsa_user_sgpr_private_segment_buffer 1
		.amdhsa_user_sgpr_dispatch_ptr 0
		.amdhsa_user_sgpr_queue_ptr 0
		.amdhsa_user_sgpr_kernarg_segment_ptr 1
		.amdhsa_user_sgpr_dispatch_id 0
		.amdhsa_user_sgpr_flat_scratch_init 0
		.amdhsa_user_sgpr_private_segment_size 0
		.amdhsa_uses_dynamic_stack 0
		.amdhsa_system_sgpr_private_segment_wavefront_offset 0
		.amdhsa_system_sgpr_workgroup_id_x 1
		.amdhsa_system_sgpr_workgroup_id_y 0
		.amdhsa_system_sgpr_workgroup_id_z 0
		.amdhsa_system_sgpr_workgroup_info 0
		.amdhsa_system_vgpr_workitem_id 0
		.amdhsa_next_free_vgpr 6
		.amdhsa_next_free_sgpr 10
		.amdhsa_reserve_vcc 1
		.amdhsa_reserve_flat_scratch 0
		.amdhsa_float_round_mode_32 0
		.amdhsa_float_round_mode_16_64 0
		.amdhsa_float_denorm_mode_32 3
		.amdhsa_float_denorm_mode_16_64 3
		.amdhsa_dx10_clamp 1
		.amdhsa_ieee_mode 1
		.amdhsa_fp16_overflow 0
		.amdhsa_exception_fp_ieee_invalid_op 0
		.amdhsa_exception_fp_denorm_src 0
		.amdhsa_exception_fp_ieee_div_zero 0
		.amdhsa_exception_fp_ieee_overflow 0
		.amdhsa_exception_fp_ieee_underflow 0
		.amdhsa_exception_fp_ieee_inexact 0
		.amdhsa_exception_int_div_zero 0
	.end_amdhsa_kernel
	.section	.text._Z19reduce_valid_kernelILj255ELN6hipcub20BlockReduceAlgorithmE2EjEvPT1_S3_j,"axG",@progbits,_Z19reduce_valid_kernelILj255ELN6hipcub20BlockReduceAlgorithmE2EjEvPT1_S3_j,comdat
.Lfunc_end43:
	.size	_Z19reduce_valid_kernelILj255ELN6hipcub20BlockReduceAlgorithmE2EjEvPT1_S3_j, .Lfunc_end43-_Z19reduce_valid_kernelILj255ELN6hipcub20BlockReduceAlgorithmE2EjEvPT1_S3_j
                                        ; -- End function
	.set _Z19reduce_valid_kernelILj255ELN6hipcub20BlockReduceAlgorithmE2EjEvPT1_S3_j.num_vgpr, 6
	.set _Z19reduce_valid_kernelILj255ELN6hipcub20BlockReduceAlgorithmE2EjEvPT1_S3_j.num_agpr, 0
	.set _Z19reduce_valid_kernelILj255ELN6hipcub20BlockReduceAlgorithmE2EjEvPT1_S3_j.numbered_sgpr, 10
	.set _Z19reduce_valid_kernelILj255ELN6hipcub20BlockReduceAlgorithmE2EjEvPT1_S3_j.num_named_barrier, 0
	.set _Z19reduce_valid_kernelILj255ELN6hipcub20BlockReduceAlgorithmE2EjEvPT1_S3_j.private_seg_size, 0
	.set _Z19reduce_valid_kernelILj255ELN6hipcub20BlockReduceAlgorithmE2EjEvPT1_S3_j.uses_vcc, 1
	.set _Z19reduce_valid_kernelILj255ELN6hipcub20BlockReduceAlgorithmE2EjEvPT1_S3_j.uses_flat_scratch, 0
	.set _Z19reduce_valid_kernelILj255ELN6hipcub20BlockReduceAlgorithmE2EjEvPT1_S3_j.has_dyn_sized_stack, 0
	.set _Z19reduce_valid_kernelILj255ELN6hipcub20BlockReduceAlgorithmE2EjEvPT1_S3_j.has_recursion, 0
	.set _Z19reduce_valid_kernelILj255ELN6hipcub20BlockReduceAlgorithmE2EjEvPT1_S3_j.has_indirect_call, 0
	.section	.AMDGPU.csdata,"",@progbits
; Kernel info:
; codeLenInByte = 560
; TotalNumSgprs: 14
; NumVgprs: 6
; ScratchSize: 0
; MemoryBound: 0
; FloatMode: 240
; IeeeMode: 1
; LDSByteSize: 1020 bytes/workgroup (compile time only)
; SGPRBlocks: 1
; VGPRBlocks: 1
; NumSGPRsForWavesPerEU: 14
; NumVGPRsForWavesPerEU: 6
; Occupancy: 10
; WaveLimiterHint : 0
; COMPUTE_PGM_RSRC2:SCRATCH_EN: 0
; COMPUTE_PGM_RSRC2:USER_SGPR: 6
; COMPUTE_PGM_RSRC2:TRAP_HANDLER: 0
; COMPUTE_PGM_RSRC2:TGID_X_EN: 1
; COMPUTE_PGM_RSRC2:TGID_Y_EN: 0
; COMPUTE_PGM_RSRC2:TGID_Z_EN: 0
; COMPUTE_PGM_RSRC2:TIDIG_COMP_CNT: 0
	.section	.text._Z19reduce_valid_kernelILj162ELN6hipcub20BlockReduceAlgorithmE2EsEvPT1_S3_j,"axG",@progbits,_Z19reduce_valid_kernelILj162ELN6hipcub20BlockReduceAlgorithmE2EsEvPT1_S3_j,comdat
	.protected	_Z19reduce_valid_kernelILj162ELN6hipcub20BlockReduceAlgorithmE2EsEvPT1_S3_j ; -- Begin function _Z19reduce_valid_kernelILj162ELN6hipcub20BlockReduceAlgorithmE2EsEvPT1_S3_j
	.globl	_Z19reduce_valid_kernelILj162ELN6hipcub20BlockReduceAlgorithmE2EsEvPT1_S3_j
	.p2align	8
	.type	_Z19reduce_valid_kernelILj162ELN6hipcub20BlockReduceAlgorithmE2EsEvPT1_S3_j,@function
_Z19reduce_valid_kernelILj162ELN6hipcub20BlockReduceAlgorithmE2EsEvPT1_S3_j: ; @_Z19reduce_valid_kernelILj162ELN6hipcub20BlockReduceAlgorithmE2EsEvPT1_S3_j
; %bb.0:
	s_load_dwordx4 s[8:11], s[4:5], 0x0
	s_load_dword s7, s[4:5], 0x10
	s_mul_i32 s0, s6, 0xa2
	v_add_u32_e32 v1, s0, v0
	v_mov_b32_e32 v2, 0
	v_lshlrev_b64 v[1:2], 1, v[1:2]
	s_waitcnt lgkmcnt(0)
	v_mov_b32_e32 v3, s9
	v_add_co_u32_e32 v1, vcc, s8, v1
	v_addc_co_u32_e32 v2, vcc, v3, v2, vcc
	global_load_ushort v2, v[1:2], off
	v_cmp_lt_u32_e32 vcc, 63, v0
	v_cmp_gt_u32_e64 s[0:1], s7, v0
	s_and_b64 s[2:3], vcc, s[0:1]
	s_and_saveexec_b64 s[0:1], s[2:3]
	s_cbranch_execz .LBB44_2
; %bb.1:
	v_lshlrev_b32_e32 v1, 1, v0
	s_waitcnt vmcnt(0)
	ds_write_b16 v1, v2
.LBB44_2:
	s_or_b64 exec, exec, s[0:1]
	v_cmp_gt_u32_e32 vcc, 64, v0
	s_waitcnt vmcnt(0) lgkmcnt(0)
	s_barrier
	s_and_saveexec_b64 s[8:9], vcc
	s_cbranch_execz .LBB44_20
; %bb.3:
	v_or_b32_e32 v1, 64, v0
	v_cmp_gt_u32_e32 vcc, s7, v1
	s_and_saveexec_b64 s[0:1], vcc
	s_cbranch_execz .LBB44_19
; %bb.4:
	v_sub_u32_e32 v3, s7, v0
	v_add_u32_e32 v3, 0xffffffbf, v3
	v_cmp_lt_u32_e32 vcc, 63, v3
	s_mov_b64 s[4:5], -1
	s_and_saveexec_b64 s[2:3], vcc
	s_cbranch_execz .LBB44_14
; %bb.5:
	v_lshrrev_b32_e32 v3, 6, v3
	v_add_u32_e32 v5, -1, v3
	v_lshrrev_b32_e32 v4, 1, v5
	v_and_b32_e32 v2, 0xffff, v2
	v_add_u32_e32 v4, 1, v4
	v_cmp_lt_u32_e32 vcc, 13, v5
	v_mov_b32_e32 v7, 0
	s_and_saveexec_b64 s[4:5], vcc
	s_cbranch_execz .LBB44_9
; %bb.6:
	v_mov_b32_e32 v6, 0x80
	v_and_b32_e32 v5, -8, v4
	v_lshl_add_u32 v6, v0, 1, v6
	s_mov_b32 s14, 0
	s_mov_b64 s[12:13], 0
	s_mov_b32 s15, 0x5040100
.LBB44_7:                               ; =>This Inner Loop Header: Depth=1
	ds_read_u16 v7, v6
	ds_read_u16 v8, v6 offset:128
	v_add_u32_e32 v5, -8, v5
	s_add_i32 s14, s14, 16
	v_cmp_eq_u32_e32 vcc, 0, v5
	s_or_b64 s[12:13], vcc, s[12:13]
	s_waitcnt lgkmcnt(0)
	v_perm_b32 v7, v8, v7, s15
	v_pk_add_u16 v2, v7, v2
	ds_read_u16 v7, v6 offset:256
	ds_read_u16 v8, v6 offset:384
	s_waitcnt lgkmcnt(0)
	v_perm_b32 v7, v8, v7, s15
	v_pk_add_u16 v2, v7, v2
	ds_read_u16 v7, v6 offset:512
	ds_read_u16 v8, v6 offset:640
	;; [unrolled: 5-line block ×7, first 2 shown]
	v_add_u32_e32 v6, 0x800, v6
	s_waitcnt lgkmcnt(0)
	v_perm_b32 v7, v8, v7, s15
	v_pk_add_u16 v2, v7, v2
	v_mov_b32_e32 v7, s14
	s_andn2_b64 exec, exec, s[12:13]
	s_cbranch_execnz .LBB44_7
; %bb.8:
	s_or_b64 exec, exec, s[12:13]
.LBB44_9:
	s_or_b64 exec, exec, s[4:5]
	v_and_b32_e32 v4, 7, v4
	v_cmp_ne_u32_e32 vcc, 0, v4
	s_and_saveexec_b64 s[4:5], vcc
	s_cbranch_execz .LBB44_13
; %bb.10:
	v_lshlrev_b32_e32 v5, 7, v7
	v_lshlrev_b32_e32 v6, 1, v0
	s_movk_i32 s12, 0x80
	v_add3_u32 v5, v5, v6, s12
	s_mov_b64 s[12:13], 0
	s_mov_b32 s14, 0x5040100
.LBB44_11:                              ; =>This Inner Loop Header: Depth=1
	ds_read_u16 v6, v5
	ds_read_u16 v7, v5 offset:128
	v_add_u32_e32 v4, -1, v4
	v_cmp_eq_u32_e32 vcc, 0, v4
	v_add_u32_e32 v5, 0x100, v5
	s_or_b64 s[12:13], vcc, s[12:13]
	s_waitcnt lgkmcnt(0)
	v_perm_b32 v6, v7, v6, s14
	v_pk_add_u16 v2, v6, v2
	s_andn2_b64 exec, exec, s[12:13]
	s_cbranch_execnz .LBB44_11
; %bb.12:
	s_or_b64 exec, exec, s[12:13]
.LBB44_13:
	s_or_b64 exec, exec, s[4:5]
	v_add_u32_e32 v3, 1, v3
	v_and_b32_e32 v4, 0x7fffffe, v3
	v_cmp_ne_u32_e32 vcc, v3, v4
	v_lshl_or_b32 v1, v4, 6, v1
	v_add_u16_sdwa v2, v2, v2 dst_sel:DWORD dst_unused:UNUSED_PAD src0_sel:DWORD src1_sel:WORD_1
	s_orn2_b64 s[4:5], vcc, exec
.LBB44_14:
	s_or_b64 exec, exec, s[2:3]
	s_and_saveexec_b64 s[2:3], s[4:5]
	s_cbranch_execz .LBB44_18
; %bb.15:
	v_lshlrev_b32_e32 v3, 1, v1
	s_mov_b64 s[4:5], 0
.LBB44_16:                              ; =>This Inner Loop Header: Depth=1
	ds_read_u16 v4, v3
	v_add_u32_e32 v1, 64, v1
	v_cmp_le_u32_e32 vcc, s7, v1
	v_add_u32_e32 v3, 0x80, v3
	s_or_b64 s[4:5], vcc, s[4:5]
	s_waitcnt lgkmcnt(0)
	v_add_u16_e32 v2, v4, v2
	s_andn2_b64 exec, exec, s[4:5]
	s_cbranch_execnz .LBB44_16
; %bb.17:
	s_or_b64 exec, exec, s[4:5]
.LBB44_18:
	s_or_b64 exec, exec, s[2:3]
.LBB44_19:
	s_or_b64 exec, exec, s[0:1]
	v_mbcnt_lo_u32_b32 v1, -1, 0
	v_mbcnt_hi_u32_b32 v1, -1, v1
	v_and_b32_e32 v3, 63, v1
	v_cmp_ne_u32_e32 vcc, 63, v3
	v_addc_co_u32_e32 v4, vcc, 0, v1, vcc
	v_lshlrev_b32_e32 v4, 2, v4
	v_and_b32_e32 v5, 0xffff, v2
	ds_bpermute_b32 v4, v4, v5
	v_add_u32_e32 v6, 1, v1
	v_cmp_gt_u32_e64 s[0:1], 62, v3
	v_cmp_gt_u32_e32 vcc, s7, v6
	v_cndmask_b32_e64 v6, 0, 2, s[0:1]
	s_waitcnt lgkmcnt(0)
	v_add_u16_e32 v4, v2, v4
	v_cndmask_b32_e32 v5, v5, v4, vcc
	v_add_lshl_u32 v6, v6, v1, 2
	ds_bpermute_b32 v6, v6, v5
	v_cndmask_b32_e32 v4, v2, v4, vcc
	v_add_u32_e32 v7, 2, v1
	v_cmp_gt_u32_e64 s[2:3], 60, v3
	v_cmp_gt_u32_e64 s[0:1], s7, v7
	s_waitcnt lgkmcnt(0)
	v_add_u16_e32 v6, v4, v6
	v_cndmask_b32_e64 v7, 0, 4, s[2:3]
	v_cndmask_b32_e64 v5, v5, v6, s[0:1]
	v_add_lshl_u32 v7, v7, v1, 2
	ds_bpermute_b32 v7, v7, v5
	v_cndmask_b32_e64 v4, v4, v6, s[0:1]
	v_add_u32_e32 v6, 4, v1
	v_cmp_gt_u32_e64 s[4:5], 56, v3
	v_cmp_gt_u32_e64 s[2:3], s7, v6
	s_waitcnt lgkmcnt(0)
	v_add_u16_e32 v7, v4, v7
	v_cndmask_b32_e64 v6, 0, 8, s[4:5]
	v_cndmask_b32_e64 v5, v5, v7, s[2:3]
	v_add_lshl_u32 v6, v6, v1, 2
	ds_bpermute_b32 v6, v6, v5
	s_or_b64 s[4:5], vcc, s[0:1]
	v_cndmask_b32_e64 v4, v4, v7, s[2:3]
	v_add_u32_e32 v7, 8, v1
	v_cmp_gt_u32_e64 s[0:1], 48, v3
	s_waitcnt lgkmcnt(0)
	v_add_u16_e32 v6, v4, v6
	v_cmp_gt_u32_e32 vcc, s7, v7
	v_cndmask_b32_e64 v3, 0, 16, s[0:1]
	v_cndmask_b32_e32 v5, v5, v6, vcc
	v_add_lshl_u32 v3, v3, v1, 2
	ds_bpermute_b32 v3, v3, v5
	s_or_b64 s[0:1], s[2:3], s[4:5]
	v_cndmask_b32_e32 v4, v4, v6, vcc
	v_add_u32_e32 v6, 16, v1
	s_or_b64 s[0:1], vcc, s[0:1]
	s_waitcnt lgkmcnt(0)
	v_add_u16_e32 v3, v4, v3
	v_cmp_gt_u32_e32 vcc, s7, v6
	v_mov_b32_e32 v6, 0x80
	v_cndmask_b32_e32 v5, v5, v3, vcc
	v_lshl_or_b32 v6, v1, 2, v6
	ds_bpermute_b32 v5, v6, v5
	v_add_u32_e32 v1, 32, v1
	s_or_b64 s[0:1], vcc, s[0:1]
	v_cndmask_b32_e32 v3, v4, v3, vcc
	v_cmp_gt_u32_e32 vcc, s7, v1
	s_waitcnt lgkmcnt(0)
	v_cndmask_b32_e32 v1, 0, v5, vcc
	v_add_u16_e32 v1, v3, v1
	s_or_b64 vcc, vcc, s[0:1]
	v_cndmask_b32_e32 v2, v2, v1, vcc
.LBB44_20:
	s_or_b64 exec, exec, s[8:9]
	s_mov_b32 s7, 0
	v_cmp_eq_u32_e32 vcc, 0, v0
	s_and_saveexec_b64 s[0:1], vcc
	s_cbranch_execz .LBB44_22
; %bb.21:
	s_lshl_b64 s[0:1], s[6:7], 1
	s_add_u32 s0, s10, s0
	s_addc_u32 s1, s11, s1
	v_mov_b32_e32 v0, 0
	global_store_short v0, v2, s[0:1]
.LBB44_22:
	s_endpgm
	.section	.rodata,"a",@progbits
	.p2align	6, 0x0
	.amdhsa_kernel _Z19reduce_valid_kernelILj162ELN6hipcub20BlockReduceAlgorithmE2EsEvPT1_S3_j
		.amdhsa_group_segment_fixed_size 324
		.amdhsa_private_segment_fixed_size 0
		.amdhsa_kernarg_size 20
		.amdhsa_user_sgpr_count 6
		.amdhsa_user_sgpr_private_segment_buffer 1
		.amdhsa_user_sgpr_dispatch_ptr 0
		.amdhsa_user_sgpr_queue_ptr 0
		.amdhsa_user_sgpr_kernarg_segment_ptr 1
		.amdhsa_user_sgpr_dispatch_id 0
		.amdhsa_user_sgpr_flat_scratch_init 0
		.amdhsa_user_sgpr_private_segment_size 0
		.amdhsa_uses_dynamic_stack 0
		.amdhsa_system_sgpr_private_segment_wavefront_offset 0
		.amdhsa_system_sgpr_workgroup_id_x 1
		.amdhsa_system_sgpr_workgroup_id_y 0
		.amdhsa_system_sgpr_workgroup_id_z 0
		.amdhsa_system_sgpr_workgroup_info 0
		.amdhsa_system_vgpr_workitem_id 0
		.amdhsa_next_free_vgpr 9
		.amdhsa_next_free_sgpr 16
		.amdhsa_reserve_vcc 1
		.amdhsa_reserve_flat_scratch 0
		.amdhsa_float_round_mode_32 0
		.amdhsa_float_round_mode_16_64 0
		.amdhsa_float_denorm_mode_32 3
		.amdhsa_float_denorm_mode_16_64 3
		.amdhsa_dx10_clamp 1
		.amdhsa_ieee_mode 1
		.amdhsa_fp16_overflow 0
		.amdhsa_exception_fp_ieee_invalid_op 0
		.amdhsa_exception_fp_denorm_src 0
		.amdhsa_exception_fp_ieee_div_zero 0
		.amdhsa_exception_fp_ieee_overflow 0
		.amdhsa_exception_fp_ieee_underflow 0
		.amdhsa_exception_fp_ieee_inexact 0
		.amdhsa_exception_int_div_zero 0
	.end_amdhsa_kernel
	.section	.text._Z19reduce_valid_kernelILj162ELN6hipcub20BlockReduceAlgorithmE2EsEvPT1_S3_j,"axG",@progbits,_Z19reduce_valid_kernelILj162ELN6hipcub20BlockReduceAlgorithmE2EsEvPT1_S3_j,comdat
.Lfunc_end44:
	.size	_Z19reduce_valid_kernelILj162ELN6hipcub20BlockReduceAlgorithmE2EsEvPT1_S3_j, .Lfunc_end44-_Z19reduce_valid_kernelILj162ELN6hipcub20BlockReduceAlgorithmE2EsEvPT1_S3_j
                                        ; -- End function
	.set _Z19reduce_valid_kernelILj162ELN6hipcub20BlockReduceAlgorithmE2EsEvPT1_S3_j.num_vgpr, 9
	.set _Z19reduce_valid_kernelILj162ELN6hipcub20BlockReduceAlgorithmE2EsEvPT1_S3_j.num_agpr, 0
	.set _Z19reduce_valid_kernelILj162ELN6hipcub20BlockReduceAlgorithmE2EsEvPT1_S3_j.numbered_sgpr, 16
	.set _Z19reduce_valid_kernelILj162ELN6hipcub20BlockReduceAlgorithmE2EsEvPT1_S3_j.num_named_barrier, 0
	.set _Z19reduce_valid_kernelILj162ELN6hipcub20BlockReduceAlgorithmE2EsEvPT1_S3_j.private_seg_size, 0
	.set _Z19reduce_valid_kernelILj162ELN6hipcub20BlockReduceAlgorithmE2EsEvPT1_S3_j.uses_vcc, 1
	.set _Z19reduce_valid_kernelILj162ELN6hipcub20BlockReduceAlgorithmE2EsEvPT1_S3_j.uses_flat_scratch, 0
	.set _Z19reduce_valid_kernelILj162ELN6hipcub20BlockReduceAlgorithmE2EsEvPT1_S3_j.has_dyn_sized_stack, 0
	.set _Z19reduce_valid_kernelILj162ELN6hipcub20BlockReduceAlgorithmE2EsEvPT1_S3_j.has_recursion, 0
	.set _Z19reduce_valid_kernelILj162ELN6hipcub20BlockReduceAlgorithmE2EsEvPT1_S3_j.has_indirect_call, 0
	.section	.AMDGPU.csdata,"",@progbits
; Kernel info:
; codeLenInByte = 1248
; TotalNumSgprs: 20
; NumVgprs: 9
; ScratchSize: 0
; MemoryBound: 0
; FloatMode: 240
; IeeeMode: 1
; LDSByteSize: 324 bytes/workgroup (compile time only)
; SGPRBlocks: 2
; VGPRBlocks: 2
; NumSGPRsForWavesPerEU: 20
; NumVGPRsForWavesPerEU: 9
; Occupancy: 10
; WaveLimiterHint : 0
; COMPUTE_PGM_RSRC2:SCRATCH_EN: 0
; COMPUTE_PGM_RSRC2:USER_SGPR: 6
; COMPUTE_PGM_RSRC2:TRAP_HANDLER: 0
; COMPUTE_PGM_RSRC2:TGID_X_EN: 1
; COMPUTE_PGM_RSRC2:TGID_Y_EN: 0
; COMPUTE_PGM_RSRC2:TGID_Z_EN: 0
; COMPUTE_PGM_RSRC2:TIDIG_COMP_CNT: 0
	.section	.text._Z19reduce_valid_kernelILj37ELN6hipcub20BlockReduceAlgorithmE2ElEvPT1_S3_j,"axG",@progbits,_Z19reduce_valid_kernelILj37ELN6hipcub20BlockReduceAlgorithmE2ElEvPT1_S3_j,comdat
	.protected	_Z19reduce_valid_kernelILj37ELN6hipcub20BlockReduceAlgorithmE2ElEvPT1_S3_j ; -- Begin function _Z19reduce_valid_kernelILj37ELN6hipcub20BlockReduceAlgorithmE2ElEvPT1_S3_j
	.globl	_Z19reduce_valid_kernelILj37ELN6hipcub20BlockReduceAlgorithmE2ElEvPT1_S3_j
	.p2align	8
	.type	_Z19reduce_valid_kernelILj37ELN6hipcub20BlockReduceAlgorithmE2ElEvPT1_S3_j,@function
_Z19reduce_valid_kernelILj37ELN6hipcub20BlockReduceAlgorithmE2ElEvPT1_S3_j: ; @_Z19reduce_valid_kernelILj37ELN6hipcub20BlockReduceAlgorithmE2ElEvPT1_S3_j
; %bb.0:
	v_mad_u64_u32 v[1:2], s[0:1], s6, 37, v[0:1]
	s_load_dwordx4 s[0:3], s[4:5], 0x0
	s_load_dword s7, s[4:5], 0x10
	v_mov_b32_e32 v2, 0
	v_lshlrev_b64 v[1:2], 3, v[1:2]
	s_waitcnt lgkmcnt(0)
	v_mov_b32_e32 v3, s1
	v_add_co_u32_e32 v1, vcc, s0, v1
	v_addc_co_u32_e32 v2, vcc, v3, v2, vcc
	global_load_dwordx2 v[1:2], v[1:2], off
	v_cmp_lt_u32_e32 vcc, 63, v0
	v_cmp_gt_u32_e64 s[0:1], s7, v0
	s_and_b64 s[4:5], vcc, s[0:1]
	s_and_saveexec_b64 s[0:1], s[4:5]
	s_cbranch_execz .LBB45_2
; %bb.1:
	v_lshlrev_b32_e32 v3, 2, v0
	s_waitcnt vmcnt(0)
	ds_write2_b32 v3, v1, v2 offset1:37
.LBB45_2:
	s_or_b64 exec, exec, s[0:1]
	v_cmp_gt_u32_e32 vcc, 64, v0
	s_waitcnt lgkmcnt(0)
	; wave barrier
	s_and_saveexec_b64 s[0:1], vcc
	s_cbranch_execz .LBB45_18
; %bb.3:
	v_or_b32_e32 v3, 64, v0
	v_cmp_gt_u32_e32 vcc, s7, v3
	s_and_saveexec_b64 s[4:5], vcc
	s_cbranch_execz .LBB45_7
; %bb.4:
	v_mov_b32_e32 v4, 0x100
	v_lshl_or_b32 v4, v0, 2, v4
	s_mov_b64 s[8:9], 0
.LBB45_5:                               ; =>This Inner Loop Header: Depth=1
	ds_read2_b32 v[5:6], v4 offset1:37
	v_add_u32_e32 v3, 64, v3
	v_cmp_le_u32_e32 vcc, s7, v3
	s_or_b64 s[8:9], vcc, s[8:9]
	v_add_u32_e32 v4, 0x100, v4
	s_waitcnt vmcnt(0) lgkmcnt(0)
	v_add_co_u32_e32 v1, vcc, v5, v1
	v_addc_co_u32_e32 v2, vcc, v6, v2, vcc
	s_andn2_b64 exec, exec, s[8:9]
	s_cbranch_execnz .LBB45_5
; %bb.6:
	s_or_b64 exec, exec, s[8:9]
.LBB45_7:
	s_or_b64 exec, exec, s[4:5]
	v_mbcnt_lo_u32_b32 v3, -1, 0
	v_mbcnt_hi_u32_b32 v3, -1, v3
	v_and_b32_e32 v5, 63, v3
	v_cmp_ne_u32_e32 vcc, 63, v5
	v_addc_co_u32_e32 v4, vcc, 0, v3, vcc
	v_lshlrev_b32_e32 v4, 2, v4
	s_waitcnt vmcnt(0)
	ds_bpermute_b32 v7, v4, v1
	ds_bpermute_b32 v6, v4, v2
	v_add_u32_e32 v4, 1, v3
	v_cmp_gt_u32_e32 vcc, s7, v4
	v_mov_b32_e32 v4, v1
	s_and_saveexec_b64 s[4:5], vcc
	s_cbranch_execz .LBB45_9
; %bb.8:
	s_waitcnt lgkmcnt(1)
	v_add_co_u32_e32 v4, vcc, v1, v7
	v_addc_co_u32_e32 v2, vcc, 0, v2, vcc
	v_add_co_u32_e32 v1, vcc, 0, v4
	s_waitcnt lgkmcnt(0)
	v_addc_co_u32_e32 v2, vcc, v6, v2, vcc
.LBB45_9:
	s_or_b64 exec, exec, s[4:5]
	v_cmp_gt_u32_e32 vcc, 62, v5
	s_waitcnt lgkmcnt(0)
	v_cndmask_b32_e64 v6, 0, 2, vcc
	v_add_lshl_u32 v6, v6, v3, 2
	ds_bpermute_b32 v7, v6, v4
	ds_bpermute_b32 v6, v6, v2
	v_add_u32_e32 v8, 2, v3
	v_cmp_gt_u32_e32 vcc, s7, v8
	s_and_saveexec_b64 s[4:5], vcc
	s_cbranch_execz .LBB45_11
; %bb.10:
	s_waitcnt lgkmcnt(1)
	v_add_co_u32_e32 v4, vcc, v1, v7
	v_addc_co_u32_e32 v2, vcc, 0, v2, vcc
	v_add_co_u32_e32 v1, vcc, 0, v4
	s_waitcnt lgkmcnt(0)
	v_addc_co_u32_e32 v2, vcc, v6, v2, vcc
.LBB45_11:
	s_or_b64 exec, exec, s[4:5]
	v_cmp_gt_u32_e32 vcc, 60, v5
	s_waitcnt lgkmcnt(0)
	v_cndmask_b32_e64 v6, 0, 4, vcc
	v_add_lshl_u32 v6, v6, v3, 2
	ds_bpermute_b32 v7, v6, v4
	ds_bpermute_b32 v6, v6, v2
	v_add_u32_e32 v8, 4, v3
	v_cmp_gt_u32_e32 vcc, s7, v8
	;; [unrolled: 19-line block ×3, first 2 shown]
	s_and_saveexec_b64 s[4:5], vcc
	s_cbranch_execz .LBB45_15
; %bb.14:
	s_waitcnt lgkmcnt(1)
	v_add_co_u32_e32 v4, vcc, v1, v7
	v_addc_co_u32_e32 v2, vcc, 0, v2, vcc
	v_add_co_u32_e32 v1, vcc, 0, v4
	s_waitcnt lgkmcnt(0)
	v_addc_co_u32_e32 v2, vcc, v6, v2, vcc
.LBB45_15:
	s_or_b64 exec, exec, s[4:5]
	v_cmp_gt_u32_e32 vcc, 48, v5
	v_cndmask_b32_e64 v5, 0, 16, vcc
	v_add_lshl_u32 v5, v5, v3, 2
	s_waitcnt lgkmcnt(0)
	ds_bpermute_b32 v6, v5, v4
	ds_bpermute_b32 v5, v5, v2
	v_add_u32_e32 v7, 16, v3
	v_cmp_gt_u32_e32 vcc, s7, v7
	s_and_saveexec_b64 s[4:5], vcc
	s_cbranch_execz .LBB45_17
; %bb.16:
	s_waitcnt lgkmcnt(1)
	v_add_co_u32_e32 v4, vcc, v1, v6
	v_addc_co_u32_e32 v2, vcc, 0, v2, vcc
	v_add_co_u32_e32 v1, vcc, 0, v4
	s_waitcnt lgkmcnt(0)
	v_addc_co_u32_e32 v2, vcc, v5, v2, vcc
.LBB45_17:
	s_or_b64 exec, exec, s[4:5]
	s_waitcnt lgkmcnt(0)
	v_mov_b32_e32 v5, 0x80
	v_lshl_or_b32 v5, v3, 2, v5
	ds_bpermute_b32 v4, v5, v4
	ds_bpermute_b32 v5, v5, v2
	v_add_u32_e32 v3, 32, v3
	s_waitcnt lgkmcnt(1)
	v_add_co_u32_e32 v4, vcc, v1, v4
	v_addc_co_u32_e32 v6, vcc, 0, v2, vcc
	v_add_co_u32_e32 v4, vcc, 0, v4
	s_waitcnt lgkmcnt(0)
	v_addc_co_u32_e32 v5, vcc, v6, v5, vcc
	v_cmp_gt_u32_e32 vcc, s7, v3
	v_cndmask_b32_e32 v2, v2, v5, vcc
	v_cndmask_b32_e32 v1, v1, v4, vcc
.LBB45_18:
	s_or_b64 exec, exec, s[0:1]
	s_mov_b32 s7, 0
	v_cmp_eq_u32_e32 vcc, 0, v0
	s_and_saveexec_b64 s[0:1], vcc
	s_cbranch_execz .LBB45_20
; %bb.19:
	s_lshl_b64 s[0:1], s[6:7], 3
	s_add_u32 s0, s2, s0
	s_addc_u32 s1, s3, s1
	v_mov_b32_e32 v0, 0
	s_waitcnt vmcnt(0)
	global_store_dwordx2 v0, v[1:2], s[0:1]
.LBB45_20:
	s_endpgm
	.section	.rodata,"a",@progbits
	.p2align	6, 0x0
	.amdhsa_kernel _Z19reduce_valid_kernelILj37ELN6hipcub20BlockReduceAlgorithmE2ElEvPT1_S3_j
		.amdhsa_group_segment_fixed_size 296
		.amdhsa_private_segment_fixed_size 0
		.amdhsa_kernarg_size 20
		.amdhsa_user_sgpr_count 6
		.amdhsa_user_sgpr_private_segment_buffer 1
		.amdhsa_user_sgpr_dispatch_ptr 0
		.amdhsa_user_sgpr_queue_ptr 0
		.amdhsa_user_sgpr_kernarg_segment_ptr 1
		.amdhsa_user_sgpr_dispatch_id 0
		.amdhsa_user_sgpr_flat_scratch_init 0
		.amdhsa_user_sgpr_private_segment_size 0
		.amdhsa_uses_dynamic_stack 0
		.amdhsa_system_sgpr_private_segment_wavefront_offset 0
		.amdhsa_system_sgpr_workgroup_id_x 1
		.amdhsa_system_sgpr_workgroup_id_y 0
		.amdhsa_system_sgpr_workgroup_id_z 0
		.amdhsa_system_sgpr_workgroup_info 0
		.amdhsa_system_vgpr_workitem_id 0
		.amdhsa_next_free_vgpr 9
		.amdhsa_next_free_sgpr 10
		.amdhsa_reserve_vcc 1
		.amdhsa_reserve_flat_scratch 0
		.amdhsa_float_round_mode_32 0
		.amdhsa_float_round_mode_16_64 0
		.amdhsa_float_denorm_mode_32 3
		.amdhsa_float_denorm_mode_16_64 3
		.amdhsa_dx10_clamp 1
		.amdhsa_ieee_mode 1
		.amdhsa_fp16_overflow 0
		.amdhsa_exception_fp_ieee_invalid_op 0
		.amdhsa_exception_fp_denorm_src 0
		.amdhsa_exception_fp_ieee_div_zero 0
		.amdhsa_exception_fp_ieee_overflow 0
		.amdhsa_exception_fp_ieee_underflow 0
		.amdhsa_exception_fp_ieee_inexact 0
		.amdhsa_exception_int_div_zero 0
	.end_amdhsa_kernel
	.section	.text._Z19reduce_valid_kernelILj37ELN6hipcub20BlockReduceAlgorithmE2ElEvPT1_S3_j,"axG",@progbits,_Z19reduce_valid_kernelILj37ELN6hipcub20BlockReduceAlgorithmE2ElEvPT1_S3_j,comdat
.Lfunc_end45:
	.size	_Z19reduce_valid_kernelILj37ELN6hipcub20BlockReduceAlgorithmE2ElEvPT1_S3_j, .Lfunc_end45-_Z19reduce_valid_kernelILj37ELN6hipcub20BlockReduceAlgorithmE2ElEvPT1_S3_j
                                        ; -- End function
	.set _Z19reduce_valid_kernelILj37ELN6hipcub20BlockReduceAlgorithmE2ElEvPT1_S3_j.num_vgpr, 9
	.set _Z19reduce_valid_kernelILj37ELN6hipcub20BlockReduceAlgorithmE2ElEvPT1_S3_j.num_agpr, 0
	.set _Z19reduce_valid_kernelILj37ELN6hipcub20BlockReduceAlgorithmE2ElEvPT1_S3_j.numbered_sgpr, 10
	.set _Z19reduce_valid_kernelILj37ELN6hipcub20BlockReduceAlgorithmE2ElEvPT1_S3_j.num_named_barrier, 0
	.set _Z19reduce_valid_kernelILj37ELN6hipcub20BlockReduceAlgorithmE2ElEvPT1_S3_j.private_seg_size, 0
	.set _Z19reduce_valid_kernelILj37ELN6hipcub20BlockReduceAlgorithmE2ElEvPT1_S3_j.uses_vcc, 1
	.set _Z19reduce_valid_kernelILj37ELN6hipcub20BlockReduceAlgorithmE2ElEvPT1_S3_j.uses_flat_scratch, 0
	.set _Z19reduce_valid_kernelILj37ELN6hipcub20BlockReduceAlgorithmE2ElEvPT1_S3_j.has_dyn_sized_stack, 0
	.set _Z19reduce_valid_kernelILj37ELN6hipcub20BlockReduceAlgorithmE2ElEvPT1_S3_j.has_recursion, 0
	.set _Z19reduce_valid_kernelILj37ELN6hipcub20BlockReduceAlgorithmE2ElEvPT1_S3_j.has_indirect_call, 0
	.section	.AMDGPU.csdata,"",@progbits
; Kernel info:
; codeLenInByte = 776
; TotalNumSgprs: 14
; NumVgprs: 9
; ScratchSize: 0
; MemoryBound: 0
; FloatMode: 240
; IeeeMode: 1
; LDSByteSize: 296 bytes/workgroup (compile time only)
; SGPRBlocks: 1
; VGPRBlocks: 2
; NumSGPRsForWavesPerEU: 14
; NumVGPRsForWavesPerEU: 9
; Occupancy: 10
; WaveLimiterHint : 0
; COMPUTE_PGM_RSRC2:SCRATCH_EN: 0
; COMPUTE_PGM_RSRC2:USER_SGPR: 6
; COMPUTE_PGM_RSRC2:TRAP_HANDLER: 0
; COMPUTE_PGM_RSRC2:TGID_X_EN: 1
; COMPUTE_PGM_RSRC2:TGID_Y_EN: 0
; COMPUTE_PGM_RSRC2:TGID_Z_EN: 0
; COMPUTE_PGM_RSRC2:TIDIG_COMP_CNT: 0
	.section	.text._Z19reduce_valid_kernelILj65ELN6hipcub20BlockReduceAlgorithmE2EmEvPT1_S3_j,"axG",@progbits,_Z19reduce_valid_kernelILj65ELN6hipcub20BlockReduceAlgorithmE2EmEvPT1_S3_j,comdat
	.protected	_Z19reduce_valid_kernelILj65ELN6hipcub20BlockReduceAlgorithmE2EmEvPT1_S3_j ; -- Begin function _Z19reduce_valid_kernelILj65ELN6hipcub20BlockReduceAlgorithmE2EmEvPT1_S3_j
	.globl	_Z19reduce_valid_kernelILj65ELN6hipcub20BlockReduceAlgorithmE2EmEvPT1_S3_j
	.p2align	8
	.type	_Z19reduce_valid_kernelILj65ELN6hipcub20BlockReduceAlgorithmE2EmEvPT1_S3_j,@function
_Z19reduce_valid_kernelILj65ELN6hipcub20BlockReduceAlgorithmE2EmEvPT1_S3_j: ; @_Z19reduce_valid_kernelILj65ELN6hipcub20BlockReduceAlgorithmE2EmEvPT1_S3_j
; %bb.0:
	s_load_dwordx4 s[0:3], s[4:5], 0x0
	s_load_dword s7, s[4:5], 0x10
	s_mul_i32 s4, s6, 0x41
	v_add_u32_e32 v1, s4, v0
	v_mov_b32_e32 v2, 0
	v_lshlrev_b64 v[1:2], 3, v[1:2]
	s_waitcnt lgkmcnt(0)
	v_mov_b32_e32 v3, s1
	v_add_co_u32_e32 v1, vcc, s0, v1
	v_addc_co_u32_e32 v2, vcc, v3, v2, vcc
	global_load_dwordx2 v[1:2], v[1:2], off
	v_cmp_lt_u32_e32 vcc, 63, v0
	v_cmp_gt_u32_e64 s[0:1], s7, v0
	s_and_b64 s[4:5], vcc, s[0:1]
	s_and_saveexec_b64 s[0:1], s[4:5]
	s_cbranch_execz .LBB46_2
; %bb.1:
	v_lshlrev_b32_e32 v3, 2, v0
	s_waitcnt vmcnt(0)
	ds_write2_b32 v3, v1, v2 offset1:65
.LBB46_2:
	s_or_b64 exec, exec, s[0:1]
	v_cmp_gt_u32_e32 vcc, 64, v0
	s_waitcnt vmcnt(0) lgkmcnt(0)
	s_barrier
	s_and_saveexec_b64 s[0:1], vcc
	s_cbranch_execz .LBB46_18
; %bb.3:
	v_or_b32_e32 v3, 64, v0
	v_cmp_gt_u32_e32 vcc, s7, v3
	s_and_saveexec_b64 s[4:5], vcc
	s_cbranch_execz .LBB46_7
; %bb.4:
	v_mov_b32_e32 v4, 0x100
	v_lshl_add_u32 v4, v0, 2, v4
	s_mov_b64 s[8:9], 0
.LBB46_5:                               ; =>This Inner Loop Header: Depth=1
	ds_read2_b32 v[5:6], v4 offset1:65
	v_add_u32_e32 v3, 64, v3
	v_cmp_le_u32_e32 vcc, s7, v3
	s_or_b64 s[8:9], vcc, s[8:9]
	v_add_u32_e32 v4, 0x100, v4
	s_waitcnt lgkmcnt(0)
	v_add_co_u32_e32 v1, vcc, v5, v1
	v_addc_co_u32_e32 v2, vcc, v6, v2, vcc
	s_andn2_b64 exec, exec, s[8:9]
	s_cbranch_execnz .LBB46_5
; %bb.6:
	s_or_b64 exec, exec, s[8:9]
.LBB46_7:
	s_or_b64 exec, exec, s[4:5]
	v_mbcnt_lo_u32_b32 v3, -1, 0
	v_mbcnt_hi_u32_b32 v3, -1, v3
	v_and_b32_e32 v5, 63, v3
	v_cmp_ne_u32_e32 vcc, 63, v5
	v_addc_co_u32_e32 v4, vcc, 0, v3, vcc
	v_lshlrev_b32_e32 v4, 2, v4
	ds_bpermute_b32 v7, v4, v1
	ds_bpermute_b32 v6, v4, v2
	v_add_u32_e32 v4, 1, v3
	v_cmp_gt_u32_e32 vcc, s7, v4
	v_mov_b32_e32 v4, v1
	s_and_saveexec_b64 s[4:5], vcc
	s_cbranch_execz .LBB46_9
; %bb.8:
	s_waitcnt lgkmcnt(1)
	v_add_co_u32_e32 v4, vcc, v1, v7
	v_addc_co_u32_e32 v2, vcc, 0, v2, vcc
	v_add_co_u32_e32 v1, vcc, 0, v4
	s_waitcnt lgkmcnt(0)
	v_addc_co_u32_e32 v2, vcc, v6, v2, vcc
.LBB46_9:
	s_or_b64 exec, exec, s[4:5]
	v_cmp_gt_u32_e32 vcc, 62, v5
	s_waitcnt lgkmcnt(0)
	v_cndmask_b32_e64 v6, 0, 2, vcc
	v_add_lshl_u32 v6, v6, v3, 2
	ds_bpermute_b32 v7, v6, v4
	ds_bpermute_b32 v6, v6, v2
	v_add_u32_e32 v8, 2, v3
	v_cmp_gt_u32_e32 vcc, s7, v8
	s_and_saveexec_b64 s[4:5], vcc
	s_cbranch_execz .LBB46_11
; %bb.10:
	s_waitcnt lgkmcnt(1)
	v_add_co_u32_e32 v4, vcc, v1, v7
	v_addc_co_u32_e32 v2, vcc, 0, v2, vcc
	v_add_co_u32_e32 v1, vcc, 0, v4
	s_waitcnt lgkmcnt(0)
	v_addc_co_u32_e32 v2, vcc, v6, v2, vcc
.LBB46_11:
	s_or_b64 exec, exec, s[4:5]
	v_cmp_gt_u32_e32 vcc, 60, v5
	s_waitcnt lgkmcnt(0)
	v_cndmask_b32_e64 v6, 0, 4, vcc
	v_add_lshl_u32 v6, v6, v3, 2
	ds_bpermute_b32 v7, v6, v4
	ds_bpermute_b32 v6, v6, v2
	v_add_u32_e32 v8, 4, v3
	v_cmp_gt_u32_e32 vcc, s7, v8
	;; [unrolled: 19-line block ×3, first 2 shown]
	s_and_saveexec_b64 s[4:5], vcc
	s_cbranch_execz .LBB46_15
; %bb.14:
	s_waitcnt lgkmcnt(1)
	v_add_co_u32_e32 v4, vcc, v1, v7
	v_addc_co_u32_e32 v2, vcc, 0, v2, vcc
	v_add_co_u32_e32 v1, vcc, 0, v4
	s_waitcnt lgkmcnt(0)
	v_addc_co_u32_e32 v2, vcc, v6, v2, vcc
.LBB46_15:
	s_or_b64 exec, exec, s[4:5]
	v_cmp_gt_u32_e32 vcc, 48, v5
	v_cndmask_b32_e64 v5, 0, 16, vcc
	v_add_lshl_u32 v5, v5, v3, 2
	s_waitcnt lgkmcnt(0)
	ds_bpermute_b32 v6, v5, v4
	ds_bpermute_b32 v5, v5, v2
	v_add_u32_e32 v7, 16, v3
	v_cmp_gt_u32_e32 vcc, s7, v7
	s_and_saveexec_b64 s[4:5], vcc
	s_cbranch_execz .LBB46_17
; %bb.16:
	s_waitcnt lgkmcnt(1)
	v_add_co_u32_e32 v4, vcc, v1, v6
	v_addc_co_u32_e32 v2, vcc, 0, v2, vcc
	v_add_co_u32_e32 v1, vcc, 0, v4
	s_waitcnt lgkmcnt(0)
	v_addc_co_u32_e32 v2, vcc, v5, v2, vcc
.LBB46_17:
	s_or_b64 exec, exec, s[4:5]
	s_waitcnt lgkmcnt(0)
	v_mov_b32_e32 v5, 0x80
	v_lshl_or_b32 v5, v3, 2, v5
	ds_bpermute_b32 v4, v5, v4
	ds_bpermute_b32 v5, v5, v2
	v_add_u32_e32 v3, 32, v3
	s_waitcnt lgkmcnt(1)
	v_add_co_u32_e32 v4, vcc, v1, v4
	v_addc_co_u32_e32 v6, vcc, 0, v2, vcc
	v_add_co_u32_e32 v4, vcc, 0, v4
	s_waitcnt lgkmcnt(0)
	v_addc_co_u32_e32 v5, vcc, v6, v5, vcc
	v_cmp_gt_u32_e32 vcc, s7, v3
	v_cndmask_b32_e32 v2, v2, v5, vcc
	v_cndmask_b32_e32 v1, v1, v4, vcc
.LBB46_18:
	s_or_b64 exec, exec, s[0:1]
	s_mov_b32 s7, 0
	v_cmp_eq_u32_e32 vcc, 0, v0
	s_and_saveexec_b64 s[0:1], vcc
	s_cbranch_execz .LBB46_20
; %bb.19:
	s_lshl_b64 s[0:1], s[6:7], 3
	s_add_u32 s0, s2, s0
	s_addc_u32 s1, s3, s1
	v_mov_b32_e32 v0, 0
	global_store_dwordx2 v0, v[1:2], s[0:1]
.LBB46_20:
	s_endpgm
	.section	.rodata,"a",@progbits
	.p2align	6, 0x0
	.amdhsa_kernel _Z19reduce_valid_kernelILj65ELN6hipcub20BlockReduceAlgorithmE2EmEvPT1_S3_j
		.amdhsa_group_segment_fixed_size 520
		.amdhsa_private_segment_fixed_size 0
		.amdhsa_kernarg_size 20
		.amdhsa_user_sgpr_count 6
		.amdhsa_user_sgpr_private_segment_buffer 1
		.amdhsa_user_sgpr_dispatch_ptr 0
		.amdhsa_user_sgpr_queue_ptr 0
		.amdhsa_user_sgpr_kernarg_segment_ptr 1
		.amdhsa_user_sgpr_dispatch_id 0
		.amdhsa_user_sgpr_flat_scratch_init 0
		.amdhsa_user_sgpr_private_segment_size 0
		.amdhsa_uses_dynamic_stack 0
		.amdhsa_system_sgpr_private_segment_wavefront_offset 0
		.amdhsa_system_sgpr_workgroup_id_x 1
		.amdhsa_system_sgpr_workgroup_id_y 0
		.amdhsa_system_sgpr_workgroup_id_z 0
		.amdhsa_system_sgpr_workgroup_info 0
		.amdhsa_system_vgpr_workitem_id 0
		.amdhsa_next_free_vgpr 9
		.amdhsa_next_free_sgpr 10
		.amdhsa_reserve_vcc 1
		.amdhsa_reserve_flat_scratch 0
		.amdhsa_float_round_mode_32 0
		.amdhsa_float_round_mode_16_64 0
		.amdhsa_float_denorm_mode_32 3
		.amdhsa_float_denorm_mode_16_64 3
		.amdhsa_dx10_clamp 1
		.amdhsa_ieee_mode 1
		.amdhsa_fp16_overflow 0
		.amdhsa_exception_fp_ieee_invalid_op 0
		.amdhsa_exception_fp_denorm_src 0
		.amdhsa_exception_fp_ieee_div_zero 0
		.amdhsa_exception_fp_ieee_overflow 0
		.amdhsa_exception_fp_ieee_underflow 0
		.amdhsa_exception_fp_ieee_inexact 0
		.amdhsa_exception_int_div_zero 0
	.end_amdhsa_kernel
	.section	.text._Z19reduce_valid_kernelILj65ELN6hipcub20BlockReduceAlgorithmE2EmEvPT1_S3_j,"axG",@progbits,_Z19reduce_valid_kernelILj65ELN6hipcub20BlockReduceAlgorithmE2EmEvPT1_S3_j,comdat
.Lfunc_end46:
	.size	_Z19reduce_valid_kernelILj65ELN6hipcub20BlockReduceAlgorithmE2EmEvPT1_S3_j, .Lfunc_end46-_Z19reduce_valid_kernelILj65ELN6hipcub20BlockReduceAlgorithmE2EmEvPT1_S3_j
                                        ; -- End function
	.set _Z19reduce_valid_kernelILj65ELN6hipcub20BlockReduceAlgorithmE2EmEvPT1_S3_j.num_vgpr, 9
	.set _Z19reduce_valid_kernelILj65ELN6hipcub20BlockReduceAlgorithmE2EmEvPT1_S3_j.num_agpr, 0
	.set _Z19reduce_valid_kernelILj65ELN6hipcub20BlockReduceAlgorithmE2EmEvPT1_S3_j.numbered_sgpr, 10
	.set _Z19reduce_valid_kernelILj65ELN6hipcub20BlockReduceAlgorithmE2EmEvPT1_S3_j.num_named_barrier, 0
	.set _Z19reduce_valid_kernelILj65ELN6hipcub20BlockReduceAlgorithmE2EmEvPT1_S3_j.private_seg_size, 0
	.set _Z19reduce_valid_kernelILj65ELN6hipcub20BlockReduceAlgorithmE2EmEvPT1_S3_j.uses_vcc, 1
	.set _Z19reduce_valid_kernelILj65ELN6hipcub20BlockReduceAlgorithmE2EmEvPT1_S3_j.uses_flat_scratch, 0
	.set _Z19reduce_valid_kernelILj65ELN6hipcub20BlockReduceAlgorithmE2EmEvPT1_S3_j.has_dyn_sized_stack, 0
	.set _Z19reduce_valid_kernelILj65ELN6hipcub20BlockReduceAlgorithmE2EmEvPT1_S3_j.has_recursion, 0
	.set _Z19reduce_valid_kernelILj65ELN6hipcub20BlockReduceAlgorithmE2EmEvPT1_S3_j.has_indirect_call, 0
	.section	.AMDGPU.csdata,"",@progbits
; Kernel info:
; codeLenInByte = 776
; TotalNumSgprs: 14
; NumVgprs: 9
; ScratchSize: 0
; MemoryBound: 0
; FloatMode: 240
; IeeeMode: 1
; LDSByteSize: 520 bytes/workgroup (compile time only)
; SGPRBlocks: 1
; VGPRBlocks: 2
; NumSGPRsForWavesPerEU: 14
; NumVGPRsForWavesPerEU: 9
; Occupancy: 10
; WaveLimiterHint : 0
; COMPUTE_PGM_RSRC2:SCRATCH_EN: 0
; COMPUTE_PGM_RSRC2:USER_SGPR: 6
; COMPUTE_PGM_RSRC2:TRAP_HANDLER: 0
; COMPUTE_PGM_RSRC2:TGID_X_EN: 1
; COMPUTE_PGM_RSRC2:TGID_Y_EN: 0
; COMPUTE_PGM_RSRC2:TGID_Z_EN: 0
; COMPUTE_PGM_RSRC2:TIDIG_COMP_CNT: 0
	.section	.text._Z19reduce_valid_kernelILj1024ELN6hipcub20BlockReduceAlgorithmE2EiEvPT1_S3_j,"axG",@progbits,_Z19reduce_valid_kernelILj1024ELN6hipcub20BlockReduceAlgorithmE2EiEvPT1_S3_j,comdat
	.protected	_Z19reduce_valid_kernelILj1024ELN6hipcub20BlockReduceAlgorithmE2EiEvPT1_S3_j ; -- Begin function _Z19reduce_valid_kernelILj1024ELN6hipcub20BlockReduceAlgorithmE2EiEvPT1_S3_j
	.globl	_Z19reduce_valid_kernelILj1024ELN6hipcub20BlockReduceAlgorithmE2EiEvPT1_S3_j
	.p2align	8
	.type	_Z19reduce_valid_kernelILj1024ELN6hipcub20BlockReduceAlgorithmE2EiEvPT1_S3_j,@function
_Z19reduce_valid_kernelILj1024ELN6hipcub20BlockReduceAlgorithmE2EiEvPT1_S3_j: ; @_Z19reduce_valid_kernelILj1024ELN6hipcub20BlockReduceAlgorithmE2EiEvPT1_S3_j
; %bb.0:
	s_load_dwordx4 s[0:3], s[4:5], 0x0
	s_load_dword s7, s[4:5], 0x10
	v_lshl_or_b32 v1, s6, 10, v0
	v_mov_b32_e32 v2, 0
	v_lshlrev_b64 v[1:2], 2, v[1:2]
	s_waitcnt lgkmcnt(0)
	v_mov_b32_e32 v3, s1
	v_add_co_u32_e32 v1, vcc, s0, v1
	v_addc_co_u32_e32 v2, vcc, v3, v2, vcc
	global_load_dword v1, v[1:2], off
	v_cmp_lt_u32_e32 vcc, 63, v0
	v_cmp_gt_u32_e64 s[0:1], s7, v0
	s_and_b64 s[4:5], vcc, s[0:1]
	s_and_saveexec_b64 s[0:1], s[4:5]
	s_cbranch_execz .LBB47_2
; %bb.1:
	v_lshlrev_b32_e32 v2, 2, v0
	s_waitcnt vmcnt(0)
	ds_write_b32 v2, v1
.LBB47_2:
	s_or_b64 exec, exec, s[0:1]
	v_cmp_gt_u32_e32 vcc, 64, v0
	s_waitcnt vmcnt(0) lgkmcnt(0)
	s_barrier
	s_and_saveexec_b64 s[0:1], vcc
	s_cbranch_execz .LBB47_8
; %bb.3:
	v_or_b32_e32 v2, 64, v0
	v_cmp_gt_u32_e32 vcc, s7, v2
	s_and_saveexec_b64 s[4:5], vcc
	s_cbranch_execz .LBB47_7
; %bb.4:
	v_mov_b32_e32 v3, 0x100
	v_lshl_add_u32 v3, v0, 2, v3
	s_mov_b64 s[8:9], 0
.LBB47_5:                               ; =>This Inner Loop Header: Depth=1
	ds_read_b32 v4, v3
	v_add_u32_e32 v2, 64, v2
	v_cmp_le_u32_e32 vcc, s7, v2
	v_add_u32_e32 v3, 0x100, v3
	s_or_b64 s[8:9], vcc, s[8:9]
	s_waitcnt lgkmcnt(0)
	v_add_u32_e32 v1, v4, v1
	s_andn2_b64 exec, exec, s[8:9]
	s_cbranch_execnz .LBB47_5
; %bb.6:
	s_or_b64 exec, exec, s[8:9]
.LBB47_7:
	s_or_b64 exec, exec, s[4:5]
	v_mbcnt_lo_u32_b32 v2, -1, 0
	v_mbcnt_hi_u32_b32 v2, -1, v2
	v_and_b32_e32 v3, 63, v2
	v_cmp_ne_u32_e32 vcc, 63, v3
	v_addc_co_u32_e32 v4, vcc, 0, v2, vcc
	v_lshlrev_b32_e32 v4, 2, v4
	ds_bpermute_b32 v4, v4, v1
	v_add_u32_e32 v5, 1, v2
	v_cmp_gt_u32_e32 vcc, s7, v5
	v_add_u32_e32 v5, 2, v2
	s_waitcnt lgkmcnt(0)
	v_cndmask_b32_e32 v4, 0, v4, vcc
	v_cmp_gt_u32_e32 vcc, 62, v3
	v_add_u32_e32 v1, v4, v1
	v_cndmask_b32_e64 v4, 0, 2, vcc
	v_add_lshl_u32 v4, v4, v2, 2
	ds_bpermute_b32 v4, v4, v1
	v_cmp_gt_u32_e32 vcc, s7, v5
	v_add_u32_e32 v5, 4, v2
	s_waitcnt lgkmcnt(0)
	v_cndmask_b32_e32 v4, 0, v4, vcc
	v_cmp_gt_u32_e32 vcc, 60, v3
	v_add_u32_e32 v1, v1, v4
	v_cndmask_b32_e64 v4, 0, 4, vcc
	v_add_lshl_u32 v4, v4, v2, 2
	ds_bpermute_b32 v4, v4, v1
	;; [unrolled: 9-line block ×3, first 2 shown]
	v_cmp_gt_u32_e32 vcc, s7, v5
	s_waitcnt lgkmcnt(0)
	v_cndmask_b32_e32 v4, 0, v4, vcc
	v_cmp_gt_u32_e32 vcc, 48, v3
	v_cndmask_b32_e64 v3, 0, 16, vcc
	v_add_u32_e32 v1, v1, v4
	v_add_lshl_u32 v3, v3, v2, 2
	ds_bpermute_b32 v3, v3, v1
	v_add_u32_e32 v4, 16, v2
	v_cmp_gt_u32_e32 vcc, s7, v4
	s_waitcnt lgkmcnt(0)
	v_cndmask_b32_e32 v3, 0, v3, vcc
	v_add_u32_e32 v1, v1, v3
	v_mov_b32_e32 v3, 0x80
	v_lshl_or_b32 v3, v2, 2, v3
	ds_bpermute_b32 v3, v3, v1
	v_add_u32_e32 v2, 32, v2
	v_cmp_gt_u32_e32 vcc, s7, v2
	s_waitcnt lgkmcnt(0)
	v_cndmask_b32_e32 v2, 0, v3, vcc
	v_add_u32_e32 v1, v1, v2
.LBB47_8:
	s_or_b64 exec, exec, s[0:1]
	s_mov_b32 s7, 0
	v_cmp_eq_u32_e32 vcc, 0, v0
	s_and_saveexec_b64 s[0:1], vcc
	s_cbranch_execz .LBB47_10
; %bb.9:
	s_lshl_b64 s[0:1], s[6:7], 2
	s_add_u32 s0, s2, s0
	s_addc_u32 s1, s3, s1
	v_mov_b32_e32 v0, 0
	global_store_dword v0, v1, s[0:1]
.LBB47_10:
	s_endpgm
	.section	.rodata,"a",@progbits
	.p2align	6, 0x0
	.amdhsa_kernel _Z19reduce_valid_kernelILj1024ELN6hipcub20BlockReduceAlgorithmE2EiEvPT1_S3_j
		.amdhsa_group_segment_fixed_size 4096
		.amdhsa_private_segment_fixed_size 0
		.amdhsa_kernarg_size 20
		.amdhsa_user_sgpr_count 6
		.amdhsa_user_sgpr_private_segment_buffer 1
		.amdhsa_user_sgpr_dispatch_ptr 0
		.amdhsa_user_sgpr_queue_ptr 0
		.amdhsa_user_sgpr_kernarg_segment_ptr 1
		.amdhsa_user_sgpr_dispatch_id 0
		.amdhsa_user_sgpr_flat_scratch_init 0
		.amdhsa_user_sgpr_private_segment_size 0
		.amdhsa_uses_dynamic_stack 0
		.amdhsa_system_sgpr_private_segment_wavefront_offset 0
		.amdhsa_system_sgpr_workgroup_id_x 1
		.amdhsa_system_sgpr_workgroup_id_y 0
		.amdhsa_system_sgpr_workgroup_id_z 0
		.amdhsa_system_sgpr_workgroup_info 0
		.amdhsa_system_vgpr_workitem_id 0
		.amdhsa_next_free_vgpr 29
		.amdhsa_next_free_sgpr 61
		.amdhsa_reserve_vcc 1
		.amdhsa_reserve_flat_scratch 0
		.amdhsa_float_round_mode_32 0
		.amdhsa_float_round_mode_16_64 0
		.amdhsa_float_denorm_mode_32 3
		.amdhsa_float_denorm_mode_16_64 3
		.amdhsa_dx10_clamp 1
		.amdhsa_ieee_mode 1
		.amdhsa_fp16_overflow 0
		.amdhsa_exception_fp_ieee_invalid_op 0
		.amdhsa_exception_fp_denorm_src 0
		.amdhsa_exception_fp_ieee_div_zero 0
		.amdhsa_exception_fp_ieee_overflow 0
		.amdhsa_exception_fp_ieee_underflow 0
		.amdhsa_exception_fp_ieee_inexact 0
		.amdhsa_exception_int_div_zero 0
	.end_amdhsa_kernel
	.section	.text._Z19reduce_valid_kernelILj1024ELN6hipcub20BlockReduceAlgorithmE2EiEvPT1_S3_j,"axG",@progbits,_Z19reduce_valid_kernelILj1024ELN6hipcub20BlockReduceAlgorithmE2EiEvPT1_S3_j,comdat
.Lfunc_end47:
	.size	_Z19reduce_valid_kernelILj1024ELN6hipcub20BlockReduceAlgorithmE2EiEvPT1_S3_j, .Lfunc_end47-_Z19reduce_valid_kernelILj1024ELN6hipcub20BlockReduceAlgorithmE2EiEvPT1_S3_j
                                        ; -- End function
	.set _Z19reduce_valid_kernelILj1024ELN6hipcub20BlockReduceAlgorithmE2EiEvPT1_S3_j.num_vgpr, 6
	.set _Z19reduce_valid_kernelILj1024ELN6hipcub20BlockReduceAlgorithmE2EiEvPT1_S3_j.num_agpr, 0
	.set _Z19reduce_valid_kernelILj1024ELN6hipcub20BlockReduceAlgorithmE2EiEvPT1_S3_j.numbered_sgpr, 10
	.set _Z19reduce_valid_kernelILj1024ELN6hipcub20BlockReduceAlgorithmE2EiEvPT1_S3_j.num_named_barrier, 0
	.set _Z19reduce_valid_kernelILj1024ELN6hipcub20BlockReduceAlgorithmE2EiEvPT1_S3_j.private_seg_size, 0
	.set _Z19reduce_valid_kernelILj1024ELN6hipcub20BlockReduceAlgorithmE2EiEvPT1_S3_j.uses_vcc, 1
	.set _Z19reduce_valid_kernelILj1024ELN6hipcub20BlockReduceAlgorithmE2EiEvPT1_S3_j.uses_flat_scratch, 0
	.set _Z19reduce_valid_kernelILj1024ELN6hipcub20BlockReduceAlgorithmE2EiEvPT1_S3_j.has_dyn_sized_stack, 0
	.set _Z19reduce_valid_kernelILj1024ELN6hipcub20BlockReduceAlgorithmE2EiEvPT1_S3_j.has_recursion, 0
	.set _Z19reduce_valid_kernelILj1024ELN6hipcub20BlockReduceAlgorithmE2EiEvPT1_S3_j.has_indirect_call, 0
	.section	.AMDGPU.csdata,"",@progbits
; Kernel info:
; codeLenInByte = 556
; TotalNumSgprs: 14
; NumVgprs: 6
; ScratchSize: 0
; MemoryBound: 0
; FloatMode: 240
; IeeeMode: 1
; LDSByteSize: 4096 bytes/workgroup (compile time only)
; SGPRBlocks: 8
; VGPRBlocks: 7
; NumSGPRsForWavesPerEU: 65
; NumVGPRsForWavesPerEU: 29
; Occupancy: 8
; WaveLimiterHint : 0
; COMPUTE_PGM_RSRC2:SCRATCH_EN: 0
; COMPUTE_PGM_RSRC2:USER_SGPR: 6
; COMPUTE_PGM_RSRC2:TRAP_HANDLER: 0
; COMPUTE_PGM_RSRC2:TGID_X_EN: 1
; COMPUTE_PGM_RSRC2:TGID_Y_EN: 0
; COMPUTE_PGM_RSRC2:TGID_Z_EN: 0
; COMPUTE_PGM_RSRC2:TIDIG_COMP_CNT: 0
	.section	.text._Z19reduce_valid_kernelILj512ELN6hipcub20BlockReduceAlgorithmE2EiEvPT1_S3_j,"axG",@progbits,_Z19reduce_valid_kernelILj512ELN6hipcub20BlockReduceAlgorithmE2EiEvPT1_S3_j,comdat
	.protected	_Z19reduce_valid_kernelILj512ELN6hipcub20BlockReduceAlgorithmE2EiEvPT1_S3_j ; -- Begin function _Z19reduce_valid_kernelILj512ELN6hipcub20BlockReduceAlgorithmE2EiEvPT1_S3_j
	.globl	_Z19reduce_valid_kernelILj512ELN6hipcub20BlockReduceAlgorithmE2EiEvPT1_S3_j
	.p2align	8
	.type	_Z19reduce_valid_kernelILj512ELN6hipcub20BlockReduceAlgorithmE2EiEvPT1_S3_j,@function
_Z19reduce_valid_kernelILj512ELN6hipcub20BlockReduceAlgorithmE2EiEvPT1_S3_j: ; @_Z19reduce_valid_kernelILj512ELN6hipcub20BlockReduceAlgorithmE2EiEvPT1_S3_j
; %bb.0:
	s_load_dwordx4 s[0:3], s[4:5], 0x0
	s_load_dword s7, s[4:5], 0x10
	v_lshl_or_b32 v1, s6, 9, v0
	v_mov_b32_e32 v2, 0
	v_lshlrev_b64 v[1:2], 2, v[1:2]
	s_waitcnt lgkmcnt(0)
	v_mov_b32_e32 v3, s1
	v_add_co_u32_e32 v1, vcc, s0, v1
	v_addc_co_u32_e32 v2, vcc, v3, v2, vcc
	global_load_dword v1, v[1:2], off
	v_cmp_lt_u32_e32 vcc, 63, v0
	v_cmp_gt_u32_e64 s[0:1], s7, v0
	s_and_b64 s[4:5], vcc, s[0:1]
	s_and_saveexec_b64 s[0:1], s[4:5]
	s_cbranch_execz .LBB48_2
; %bb.1:
	v_lshlrev_b32_e32 v2, 2, v0
	s_waitcnt vmcnt(0)
	ds_write_b32 v2, v1
.LBB48_2:
	s_or_b64 exec, exec, s[0:1]
	v_cmp_gt_u32_e32 vcc, 64, v0
	s_waitcnt vmcnt(0) lgkmcnt(0)
	s_barrier
	s_and_saveexec_b64 s[0:1], vcc
	s_cbranch_execz .LBB48_8
; %bb.3:
	v_or_b32_e32 v2, 64, v0
	v_cmp_gt_u32_e32 vcc, s7, v2
	s_and_saveexec_b64 s[4:5], vcc
	s_cbranch_execz .LBB48_7
; %bb.4:
	v_mov_b32_e32 v3, 0x100
	v_lshl_add_u32 v3, v0, 2, v3
	s_mov_b64 s[8:9], 0
.LBB48_5:                               ; =>This Inner Loop Header: Depth=1
	ds_read_b32 v4, v3
	v_add_u32_e32 v2, 64, v2
	v_cmp_le_u32_e32 vcc, s7, v2
	v_add_u32_e32 v3, 0x100, v3
	s_or_b64 s[8:9], vcc, s[8:9]
	s_waitcnt lgkmcnt(0)
	v_add_u32_e32 v1, v4, v1
	s_andn2_b64 exec, exec, s[8:9]
	s_cbranch_execnz .LBB48_5
; %bb.6:
	s_or_b64 exec, exec, s[8:9]
.LBB48_7:
	s_or_b64 exec, exec, s[4:5]
	v_mbcnt_lo_u32_b32 v2, -1, 0
	v_mbcnt_hi_u32_b32 v2, -1, v2
	v_and_b32_e32 v3, 63, v2
	v_cmp_ne_u32_e32 vcc, 63, v3
	v_addc_co_u32_e32 v4, vcc, 0, v2, vcc
	v_lshlrev_b32_e32 v4, 2, v4
	ds_bpermute_b32 v4, v4, v1
	v_add_u32_e32 v5, 1, v2
	v_cmp_gt_u32_e32 vcc, s7, v5
	v_add_u32_e32 v5, 2, v2
	s_waitcnt lgkmcnt(0)
	v_cndmask_b32_e32 v4, 0, v4, vcc
	v_cmp_gt_u32_e32 vcc, 62, v3
	v_add_u32_e32 v1, v4, v1
	v_cndmask_b32_e64 v4, 0, 2, vcc
	v_add_lshl_u32 v4, v4, v2, 2
	ds_bpermute_b32 v4, v4, v1
	v_cmp_gt_u32_e32 vcc, s7, v5
	v_add_u32_e32 v5, 4, v2
	s_waitcnt lgkmcnt(0)
	v_cndmask_b32_e32 v4, 0, v4, vcc
	v_cmp_gt_u32_e32 vcc, 60, v3
	v_add_u32_e32 v1, v1, v4
	v_cndmask_b32_e64 v4, 0, 4, vcc
	v_add_lshl_u32 v4, v4, v2, 2
	ds_bpermute_b32 v4, v4, v1
	;; [unrolled: 9-line block ×3, first 2 shown]
	v_cmp_gt_u32_e32 vcc, s7, v5
	s_waitcnt lgkmcnt(0)
	v_cndmask_b32_e32 v4, 0, v4, vcc
	v_cmp_gt_u32_e32 vcc, 48, v3
	v_cndmask_b32_e64 v3, 0, 16, vcc
	v_add_u32_e32 v1, v1, v4
	v_add_lshl_u32 v3, v3, v2, 2
	ds_bpermute_b32 v3, v3, v1
	v_add_u32_e32 v4, 16, v2
	v_cmp_gt_u32_e32 vcc, s7, v4
	s_waitcnt lgkmcnt(0)
	v_cndmask_b32_e32 v3, 0, v3, vcc
	v_add_u32_e32 v1, v1, v3
	v_mov_b32_e32 v3, 0x80
	v_lshl_or_b32 v3, v2, 2, v3
	ds_bpermute_b32 v3, v3, v1
	v_add_u32_e32 v2, 32, v2
	v_cmp_gt_u32_e32 vcc, s7, v2
	s_waitcnt lgkmcnt(0)
	v_cndmask_b32_e32 v2, 0, v3, vcc
	v_add_u32_e32 v1, v1, v2
.LBB48_8:
	s_or_b64 exec, exec, s[0:1]
	s_mov_b32 s7, 0
	v_cmp_eq_u32_e32 vcc, 0, v0
	s_and_saveexec_b64 s[0:1], vcc
	s_cbranch_execz .LBB48_10
; %bb.9:
	s_lshl_b64 s[0:1], s[6:7], 2
	s_add_u32 s0, s2, s0
	s_addc_u32 s1, s3, s1
	v_mov_b32_e32 v0, 0
	global_store_dword v0, v1, s[0:1]
.LBB48_10:
	s_endpgm
	.section	.rodata,"a",@progbits
	.p2align	6, 0x0
	.amdhsa_kernel _Z19reduce_valid_kernelILj512ELN6hipcub20BlockReduceAlgorithmE2EiEvPT1_S3_j
		.amdhsa_group_segment_fixed_size 2048
		.amdhsa_private_segment_fixed_size 0
		.amdhsa_kernarg_size 20
		.amdhsa_user_sgpr_count 6
		.amdhsa_user_sgpr_private_segment_buffer 1
		.amdhsa_user_sgpr_dispatch_ptr 0
		.amdhsa_user_sgpr_queue_ptr 0
		.amdhsa_user_sgpr_kernarg_segment_ptr 1
		.amdhsa_user_sgpr_dispatch_id 0
		.amdhsa_user_sgpr_flat_scratch_init 0
		.amdhsa_user_sgpr_private_segment_size 0
		.amdhsa_uses_dynamic_stack 0
		.amdhsa_system_sgpr_private_segment_wavefront_offset 0
		.amdhsa_system_sgpr_workgroup_id_x 1
		.amdhsa_system_sgpr_workgroup_id_y 0
		.amdhsa_system_sgpr_workgroup_id_z 0
		.amdhsa_system_sgpr_workgroup_info 0
		.amdhsa_system_vgpr_workitem_id 0
		.amdhsa_next_free_vgpr 6
		.amdhsa_next_free_sgpr 10
		.amdhsa_reserve_vcc 1
		.amdhsa_reserve_flat_scratch 0
		.amdhsa_float_round_mode_32 0
		.amdhsa_float_round_mode_16_64 0
		.amdhsa_float_denorm_mode_32 3
		.amdhsa_float_denorm_mode_16_64 3
		.amdhsa_dx10_clamp 1
		.amdhsa_ieee_mode 1
		.amdhsa_fp16_overflow 0
		.amdhsa_exception_fp_ieee_invalid_op 0
		.amdhsa_exception_fp_denorm_src 0
		.amdhsa_exception_fp_ieee_div_zero 0
		.amdhsa_exception_fp_ieee_overflow 0
		.amdhsa_exception_fp_ieee_underflow 0
		.amdhsa_exception_fp_ieee_inexact 0
		.amdhsa_exception_int_div_zero 0
	.end_amdhsa_kernel
	.section	.text._Z19reduce_valid_kernelILj512ELN6hipcub20BlockReduceAlgorithmE2EiEvPT1_S3_j,"axG",@progbits,_Z19reduce_valid_kernelILj512ELN6hipcub20BlockReduceAlgorithmE2EiEvPT1_S3_j,comdat
.Lfunc_end48:
	.size	_Z19reduce_valid_kernelILj512ELN6hipcub20BlockReduceAlgorithmE2EiEvPT1_S3_j, .Lfunc_end48-_Z19reduce_valid_kernelILj512ELN6hipcub20BlockReduceAlgorithmE2EiEvPT1_S3_j
                                        ; -- End function
	.set _Z19reduce_valid_kernelILj512ELN6hipcub20BlockReduceAlgorithmE2EiEvPT1_S3_j.num_vgpr, 6
	.set _Z19reduce_valid_kernelILj512ELN6hipcub20BlockReduceAlgorithmE2EiEvPT1_S3_j.num_agpr, 0
	.set _Z19reduce_valid_kernelILj512ELN6hipcub20BlockReduceAlgorithmE2EiEvPT1_S3_j.numbered_sgpr, 10
	.set _Z19reduce_valid_kernelILj512ELN6hipcub20BlockReduceAlgorithmE2EiEvPT1_S3_j.num_named_barrier, 0
	.set _Z19reduce_valid_kernelILj512ELN6hipcub20BlockReduceAlgorithmE2EiEvPT1_S3_j.private_seg_size, 0
	.set _Z19reduce_valid_kernelILj512ELN6hipcub20BlockReduceAlgorithmE2EiEvPT1_S3_j.uses_vcc, 1
	.set _Z19reduce_valid_kernelILj512ELN6hipcub20BlockReduceAlgorithmE2EiEvPT1_S3_j.uses_flat_scratch, 0
	.set _Z19reduce_valid_kernelILj512ELN6hipcub20BlockReduceAlgorithmE2EiEvPT1_S3_j.has_dyn_sized_stack, 0
	.set _Z19reduce_valid_kernelILj512ELN6hipcub20BlockReduceAlgorithmE2EiEvPT1_S3_j.has_recursion, 0
	.set _Z19reduce_valid_kernelILj512ELN6hipcub20BlockReduceAlgorithmE2EiEvPT1_S3_j.has_indirect_call, 0
	.section	.AMDGPU.csdata,"",@progbits
; Kernel info:
; codeLenInByte = 556
; TotalNumSgprs: 14
; NumVgprs: 6
; ScratchSize: 0
; MemoryBound: 0
; FloatMode: 240
; IeeeMode: 1
; LDSByteSize: 2048 bytes/workgroup (compile time only)
; SGPRBlocks: 1
; VGPRBlocks: 1
; NumSGPRsForWavesPerEU: 14
; NumVGPRsForWavesPerEU: 6
; Occupancy: 10
; WaveLimiterHint : 0
; COMPUTE_PGM_RSRC2:SCRATCH_EN: 0
; COMPUTE_PGM_RSRC2:USER_SGPR: 6
; COMPUTE_PGM_RSRC2:TRAP_HANDLER: 0
; COMPUTE_PGM_RSRC2:TGID_X_EN: 1
; COMPUTE_PGM_RSRC2:TGID_Y_EN: 0
; COMPUTE_PGM_RSRC2:TGID_Z_EN: 0
; COMPUTE_PGM_RSRC2:TIDIG_COMP_CNT: 0
	.section	.text._Z19reduce_valid_kernelILj256ELN6hipcub20BlockReduceAlgorithmE2EiEvPT1_S3_j,"axG",@progbits,_Z19reduce_valid_kernelILj256ELN6hipcub20BlockReduceAlgorithmE2EiEvPT1_S3_j,comdat
	.protected	_Z19reduce_valid_kernelILj256ELN6hipcub20BlockReduceAlgorithmE2EiEvPT1_S3_j ; -- Begin function _Z19reduce_valid_kernelILj256ELN6hipcub20BlockReduceAlgorithmE2EiEvPT1_S3_j
	.globl	_Z19reduce_valid_kernelILj256ELN6hipcub20BlockReduceAlgorithmE2EiEvPT1_S3_j
	.p2align	8
	.type	_Z19reduce_valid_kernelILj256ELN6hipcub20BlockReduceAlgorithmE2EiEvPT1_S3_j,@function
_Z19reduce_valid_kernelILj256ELN6hipcub20BlockReduceAlgorithmE2EiEvPT1_S3_j: ; @_Z19reduce_valid_kernelILj256ELN6hipcub20BlockReduceAlgorithmE2EiEvPT1_S3_j
; %bb.0:
	s_load_dwordx4 s[0:3], s[4:5], 0x0
	s_load_dword s7, s[4:5], 0x10
	v_lshl_or_b32 v1, s6, 8, v0
	v_mov_b32_e32 v2, 0
	v_lshlrev_b64 v[1:2], 2, v[1:2]
	s_waitcnt lgkmcnt(0)
	v_mov_b32_e32 v3, s1
	v_add_co_u32_e32 v1, vcc, s0, v1
	v_addc_co_u32_e32 v2, vcc, v3, v2, vcc
	global_load_dword v1, v[1:2], off
	v_cmp_lt_u32_e32 vcc, 63, v0
	v_cmp_gt_u32_e64 s[0:1], s7, v0
	s_and_b64 s[4:5], vcc, s[0:1]
	s_and_saveexec_b64 s[0:1], s[4:5]
	s_cbranch_execz .LBB49_2
; %bb.1:
	v_lshlrev_b32_e32 v2, 2, v0
	s_waitcnt vmcnt(0)
	ds_write_b32 v2, v1
.LBB49_2:
	s_or_b64 exec, exec, s[0:1]
	v_cmp_gt_u32_e32 vcc, 64, v0
	s_waitcnt vmcnt(0) lgkmcnt(0)
	s_barrier
	s_and_saveexec_b64 s[0:1], vcc
	s_cbranch_execz .LBB49_8
; %bb.3:
	v_or_b32_e32 v2, 64, v0
	v_cmp_gt_u32_e32 vcc, s7, v2
	s_and_saveexec_b64 s[4:5], vcc
	s_cbranch_execz .LBB49_7
; %bb.4:
	v_mov_b32_e32 v3, 0x100
	v_lshl_add_u32 v3, v0, 2, v3
	s_mov_b64 s[8:9], 0
.LBB49_5:                               ; =>This Inner Loop Header: Depth=1
	ds_read_b32 v4, v3
	v_add_u32_e32 v2, 64, v2
	v_cmp_le_u32_e32 vcc, s7, v2
	v_add_u32_e32 v3, 0x100, v3
	s_or_b64 s[8:9], vcc, s[8:9]
	s_waitcnt lgkmcnt(0)
	v_add_u32_e32 v1, v4, v1
	s_andn2_b64 exec, exec, s[8:9]
	s_cbranch_execnz .LBB49_5
; %bb.6:
	s_or_b64 exec, exec, s[8:9]
.LBB49_7:
	s_or_b64 exec, exec, s[4:5]
	v_mbcnt_lo_u32_b32 v2, -1, 0
	v_mbcnt_hi_u32_b32 v2, -1, v2
	v_and_b32_e32 v3, 63, v2
	v_cmp_ne_u32_e32 vcc, 63, v3
	v_addc_co_u32_e32 v4, vcc, 0, v2, vcc
	v_lshlrev_b32_e32 v4, 2, v4
	ds_bpermute_b32 v4, v4, v1
	v_add_u32_e32 v5, 1, v2
	v_cmp_gt_u32_e32 vcc, s7, v5
	v_add_u32_e32 v5, 2, v2
	s_waitcnt lgkmcnt(0)
	v_cndmask_b32_e32 v4, 0, v4, vcc
	v_cmp_gt_u32_e32 vcc, 62, v3
	v_add_u32_e32 v1, v4, v1
	v_cndmask_b32_e64 v4, 0, 2, vcc
	v_add_lshl_u32 v4, v4, v2, 2
	ds_bpermute_b32 v4, v4, v1
	v_cmp_gt_u32_e32 vcc, s7, v5
	v_add_u32_e32 v5, 4, v2
	s_waitcnt lgkmcnt(0)
	v_cndmask_b32_e32 v4, 0, v4, vcc
	v_cmp_gt_u32_e32 vcc, 60, v3
	v_add_u32_e32 v1, v1, v4
	v_cndmask_b32_e64 v4, 0, 4, vcc
	v_add_lshl_u32 v4, v4, v2, 2
	ds_bpermute_b32 v4, v4, v1
	;; [unrolled: 9-line block ×3, first 2 shown]
	v_cmp_gt_u32_e32 vcc, s7, v5
	s_waitcnt lgkmcnt(0)
	v_cndmask_b32_e32 v4, 0, v4, vcc
	v_cmp_gt_u32_e32 vcc, 48, v3
	v_cndmask_b32_e64 v3, 0, 16, vcc
	v_add_u32_e32 v1, v1, v4
	v_add_lshl_u32 v3, v3, v2, 2
	ds_bpermute_b32 v3, v3, v1
	v_add_u32_e32 v4, 16, v2
	v_cmp_gt_u32_e32 vcc, s7, v4
	s_waitcnt lgkmcnt(0)
	v_cndmask_b32_e32 v3, 0, v3, vcc
	v_add_u32_e32 v1, v1, v3
	v_mov_b32_e32 v3, 0x80
	v_lshl_or_b32 v3, v2, 2, v3
	ds_bpermute_b32 v3, v3, v1
	v_add_u32_e32 v2, 32, v2
	v_cmp_gt_u32_e32 vcc, s7, v2
	s_waitcnt lgkmcnt(0)
	v_cndmask_b32_e32 v2, 0, v3, vcc
	v_add_u32_e32 v1, v1, v2
.LBB49_8:
	s_or_b64 exec, exec, s[0:1]
	s_mov_b32 s7, 0
	v_cmp_eq_u32_e32 vcc, 0, v0
	s_and_saveexec_b64 s[0:1], vcc
	s_cbranch_execz .LBB49_10
; %bb.9:
	s_lshl_b64 s[0:1], s[6:7], 2
	s_add_u32 s0, s2, s0
	s_addc_u32 s1, s3, s1
	v_mov_b32_e32 v0, 0
	global_store_dword v0, v1, s[0:1]
.LBB49_10:
	s_endpgm
	.section	.rodata,"a",@progbits
	.p2align	6, 0x0
	.amdhsa_kernel _Z19reduce_valid_kernelILj256ELN6hipcub20BlockReduceAlgorithmE2EiEvPT1_S3_j
		.amdhsa_group_segment_fixed_size 1024
		.amdhsa_private_segment_fixed_size 0
		.amdhsa_kernarg_size 20
		.amdhsa_user_sgpr_count 6
		.amdhsa_user_sgpr_private_segment_buffer 1
		.amdhsa_user_sgpr_dispatch_ptr 0
		.amdhsa_user_sgpr_queue_ptr 0
		.amdhsa_user_sgpr_kernarg_segment_ptr 1
		.amdhsa_user_sgpr_dispatch_id 0
		.amdhsa_user_sgpr_flat_scratch_init 0
		.amdhsa_user_sgpr_private_segment_size 0
		.amdhsa_uses_dynamic_stack 0
		.amdhsa_system_sgpr_private_segment_wavefront_offset 0
		.amdhsa_system_sgpr_workgroup_id_x 1
		.amdhsa_system_sgpr_workgroup_id_y 0
		.amdhsa_system_sgpr_workgroup_id_z 0
		.amdhsa_system_sgpr_workgroup_info 0
		.amdhsa_system_vgpr_workitem_id 0
		.amdhsa_next_free_vgpr 6
		.amdhsa_next_free_sgpr 10
		.amdhsa_reserve_vcc 1
		.amdhsa_reserve_flat_scratch 0
		.amdhsa_float_round_mode_32 0
		.amdhsa_float_round_mode_16_64 0
		.amdhsa_float_denorm_mode_32 3
		.amdhsa_float_denorm_mode_16_64 3
		.amdhsa_dx10_clamp 1
		.amdhsa_ieee_mode 1
		.amdhsa_fp16_overflow 0
		.amdhsa_exception_fp_ieee_invalid_op 0
		.amdhsa_exception_fp_denorm_src 0
		.amdhsa_exception_fp_ieee_div_zero 0
		.amdhsa_exception_fp_ieee_overflow 0
		.amdhsa_exception_fp_ieee_underflow 0
		.amdhsa_exception_fp_ieee_inexact 0
		.amdhsa_exception_int_div_zero 0
	.end_amdhsa_kernel
	.section	.text._Z19reduce_valid_kernelILj256ELN6hipcub20BlockReduceAlgorithmE2EiEvPT1_S3_j,"axG",@progbits,_Z19reduce_valid_kernelILj256ELN6hipcub20BlockReduceAlgorithmE2EiEvPT1_S3_j,comdat
.Lfunc_end49:
	.size	_Z19reduce_valid_kernelILj256ELN6hipcub20BlockReduceAlgorithmE2EiEvPT1_S3_j, .Lfunc_end49-_Z19reduce_valid_kernelILj256ELN6hipcub20BlockReduceAlgorithmE2EiEvPT1_S3_j
                                        ; -- End function
	.set _Z19reduce_valid_kernelILj256ELN6hipcub20BlockReduceAlgorithmE2EiEvPT1_S3_j.num_vgpr, 6
	.set _Z19reduce_valid_kernelILj256ELN6hipcub20BlockReduceAlgorithmE2EiEvPT1_S3_j.num_agpr, 0
	.set _Z19reduce_valid_kernelILj256ELN6hipcub20BlockReduceAlgorithmE2EiEvPT1_S3_j.numbered_sgpr, 10
	.set _Z19reduce_valid_kernelILj256ELN6hipcub20BlockReduceAlgorithmE2EiEvPT1_S3_j.num_named_barrier, 0
	.set _Z19reduce_valid_kernelILj256ELN6hipcub20BlockReduceAlgorithmE2EiEvPT1_S3_j.private_seg_size, 0
	.set _Z19reduce_valid_kernelILj256ELN6hipcub20BlockReduceAlgorithmE2EiEvPT1_S3_j.uses_vcc, 1
	.set _Z19reduce_valid_kernelILj256ELN6hipcub20BlockReduceAlgorithmE2EiEvPT1_S3_j.uses_flat_scratch, 0
	.set _Z19reduce_valid_kernelILj256ELN6hipcub20BlockReduceAlgorithmE2EiEvPT1_S3_j.has_dyn_sized_stack, 0
	.set _Z19reduce_valid_kernelILj256ELN6hipcub20BlockReduceAlgorithmE2EiEvPT1_S3_j.has_recursion, 0
	.set _Z19reduce_valid_kernelILj256ELN6hipcub20BlockReduceAlgorithmE2EiEvPT1_S3_j.has_indirect_call, 0
	.section	.AMDGPU.csdata,"",@progbits
; Kernel info:
; codeLenInByte = 556
; TotalNumSgprs: 14
; NumVgprs: 6
; ScratchSize: 0
; MemoryBound: 0
; FloatMode: 240
; IeeeMode: 1
; LDSByteSize: 1024 bytes/workgroup (compile time only)
; SGPRBlocks: 1
; VGPRBlocks: 1
; NumSGPRsForWavesPerEU: 14
; NumVGPRsForWavesPerEU: 6
; Occupancy: 10
; WaveLimiterHint : 0
; COMPUTE_PGM_RSRC2:SCRATCH_EN: 0
; COMPUTE_PGM_RSRC2:USER_SGPR: 6
; COMPUTE_PGM_RSRC2:TRAP_HANDLER: 0
; COMPUTE_PGM_RSRC2:TGID_X_EN: 1
; COMPUTE_PGM_RSRC2:TGID_Y_EN: 0
; COMPUTE_PGM_RSRC2:TGID_Z_EN: 0
; COMPUTE_PGM_RSRC2:TIDIG_COMP_CNT: 0
	.section	.text._Z19reduce_valid_kernelILj192ELN6hipcub20BlockReduceAlgorithmE2EiEvPT1_S3_j,"axG",@progbits,_Z19reduce_valid_kernelILj192ELN6hipcub20BlockReduceAlgorithmE2EiEvPT1_S3_j,comdat
	.protected	_Z19reduce_valid_kernelILj192ELN6hipcub20BlockReduceAlgorithmE2EiEvPT1_S3_j ; -- Begin function _Z19reduce_valid_kernelILj192ELN6hipcub20BlockReduceAlgorithmE2EiEvPT1_S3_j
	.globl	_Z19reduce_valid_kernelILj192ELN6hipcub20BlockReduceAlgorithmE2EiEvPT1_S3_j
	.p2align	8
	.type	_Z19reduce_valid_kernelILj192ELN6hipcub20BlockReduceAlgorithmE2EiEvPT1_S3_j,@function
_Z19reduce_valid_kernelILj192ELN6hipcub20BlockReduceAlgorithmE2EiEvPT1_S3_j: ; @_Z19reduce_valid_kernelILj192ELN6hipcub20BlockReduceAlgorithmE2EiEvPT1_S3_j
; %bb.0:
	s_load_dwordx4 s[0:3], s[4:5], 0x0
	s_load_dword s7, s[4:5], 0x10
	s_mul_i32 s4, s6, 0xc0
	v_add_u32_e32 v1, s4, v0
	v_mov_b32_e32 v2, 0
	v_lshlrev_b64 v[1:2], 2, v[1:2]
	s_waitcnt lgkmcnt(0)
	v_mov_b32_e32 v3, s1
	v_add_co_u32_e32 v1, vcc, s0, v1
	v_addc_co_u32_e32 v2, vcc, v3, v2, vcc
	global_load_dword v1, v[1:2], off
	v_cmp_lt_u32_e32 vcc, 63, v0
	v_cmp_gt_u32_e64 s[0:1], s7, v0
	s_and_b64 s[4:5], vcc, s[0:1]
	s_and_saveexec_b64 s[0:1], s[4:5]
	s_cbranch_execz .LBB50_2
; %bb.1:
	v_lshlrev_b32_e32 v2, 2, v0
	s_waitcnt vmcnt(0)
	ds_write_b32 v2, v1
.LBB50_2:
	s_or_b64 exec, exec, s[0:1]
	v_cmp_gt_u32_e32 vcc, 64, v0
	s_waitcnt vmcnt(0) lgkmcnt(0)
	s_barrier
	s_and_saveexec_b64 s[0:1], vcc
	s_cbranch_execz .LBB50_8
; %bb.3:
	v_or_b32_e32 v2, 64, v0
	v_cmp_gt_u32_e32 vcc, s7, v2
	s_and_saveexec_b64 s[4:5], vcc
	s_cbranch_execz .LBB50_7
; %bb.4:
	v_mov_b32_e32 v3, 0x100
	v_lshl_add_u32 v3, v0, 2, v3
	s_mov_b64 s[8:9], 0
.LBB50_5:                               ; =>This Inner Loop Header: Depth=1
	ds_read_b32 v4, v3
	v_add_u32_e32 v2, 64, v2
	v_cmp_le_u32_e32 vcc, s7, v2
	v_add_u32_e32 v3, 0x100, v3
	s_or_b64 s[8:9], vcc, s[8:9]
	s_waitcnt lgkmcnt(0)
	v_add_u32_e32 v1, v4, v1
	s_andn2_b64 exec, exec, s[8:9]
	s_cbranch_execnz .LBB50_5
; %bb.6:
	s_or_b64 exec, exec, s[8:9]
.LBB50_7:
	s_or_b64 exec, exec, s[4:5]
	v_mbcnt_lo_u32_b32 v2, -1, 0
	v_mbcnt_hi_u32_b32 v2, -1, v2
	v_and_b32_e32 v3, 63, v2
	v_cmp_ne_u32_e32 vcc, 63, v3
	v_addc_co_u32_e32 v4, vcc, 0, v2, vcc
	v_lshlrev_b32_e32 v4, 2, v4
	ds_bpermute_b32 v4, v4, v1
	v_add_u32_e32 v5, 1, v2
	v_cmp_gt_u32_e32 vcc, s7, v5
	v_add_u32_e32 v5, 2, v2
	s_waitcnt lgkmcnt(0)
	v_cndmask_b32_e32 v4, 0, v4, vcc
	v_cmp_gt_u32_e32 vcc, 62, v3
	v_add_u32_e32 v1, v4, v1
	v_cndmask_b32_e64 v4, 0, 2, vcc
	v_add_lshl_u32 v4, v4, v2, 2
	ds_bpermute_b32 v4, v4, v1
	v_cmp_gt_u32_e32 vcc, s7, v5
	v_add_u32_e32 v5, 4, v2
	s_waitcnt lgkmcnt(0)
	v_cndmask_b32_e32 v4, 0, v4, vcc
	v_cmp_gt_u32_e32 vcc, 60, v3
	v_add_u32_e32 v1, v1, v4
	v_cndmask_b32_e64 v4, 0, 4, vcc
	v_add_lshl_u32 v4, v4, v2, 2
	ds_bpermute_b32 v4, v4, v1
	;; [unrolled: 9-line block ×3, first 2 shown]
	v_cmp_gt_u32_e32 vcc, s7, v5
	s_waitcnt lgkmcnt(0)
	v_cndmask_b32_e32 v4, 0, v4, vcc
	v_cmp_gt_u32_e32 vcc, 48, v3
	v_cndmask_b32_e64 v3, 0, 16, vcc
	v_add_u32_e32 v1, v1, v4
	v_add_lshl_u32 v3, v3, v2, 2
	ds_bpermute_b32 v3, v3, v1
	v_add_u32_e32 v4, 16, v2
	v_cmp_gt_u32_e32 vcc, s7, v4
	s_waitcnt lgkmcnt(0)
	v_cndmask_b32_e32 v3, 0, v3, vcc
	v_add_u32_e32 v1, v1, v3
	v_mov_b32_e32 v3, 0x80
	v_lshl_or_b32 v3, v2, 2, v3
	ds_bpermute_b32 v3, v3, v1
	v_add_u32_e32 v2, 32, v2
	v_cmp_gt_u32_e32 vcc, s7, v2
	s_waitcnt lgkmcnt(0)
	v_cndmask_b32_e32 v2, 0, v3, vcc
	v_add_u32_e32 v1, v1, v2
.LBB50_8:
	s_or_b64 exec, exec, s[0:1]
	s_mov_b32 s7, 0
	v_cmp_eq_u32_e32 vcc, 0, v0
	s_and_saveexec_b64 s[0:1], vcc
	s_cbranch_execz .LBB50_10
; %bb.9:
	s_lshl_b64 s[0:1], s[6:7], 2
	s_add_u32 s0, s2, s0
	s_addc_u32 s1, s3, s1
	v_mov_b32_e32 v0, 0
	global_store_dword v0, v1, s[0:1]
.LBB50_10:
	s_endpgm
	.section	.rodata,"a",@progbits
	.p2align	6, 0x0
	.amdhsa_kernel _Z19reduce_valid_kernelILj192ELN6hipcub20BlockReduceAlgorithmE2EiEvPT1_S3_j
		.amdhsa_group_segment_fixed_size 768
		.amdhsa_private_segment_fixed_size 0
		.amdhsa_kernarg_size 20
		.amdhsa_user_sgpr_count 6
		.amdhsa_user_sgpr_private_segment_buffer 1
		.amdhsa_user_sgpr_dispatch_ptr 0
		.amdhsa_user_sgpr_queue_ptr 0
		.amdhsa_user_sgpr_kernarg_segment_ptr 1
		.amdhsa_user_sgpr_dispatch_id 0
		.amdhsa_user_sgpr_flat_scratch_init 0
		.amdhsa_user_sgpr_private_segment_size 0
		.amdhsa_uses_dynamic_stack 0
		.amdhsa_system_sgpr_private_segment_wavefront_offset 0
		.amdhsa_system_sgpr_workgroup_id_x 1
		.amdhsa_system_sgpr_workgroup_id_y 0
		.amdhsa_system_sgpr_workgroup_id_z 0
		.amdhsa_system_sgpr_workgroup_info 0
		.amdhsa_system_vgpr_workitem_id 0
		.amdhsa_next_free_vgpr 6
		.amdhsa_next_free_sgpr 10
		.amdhsa_reserve_vcc 1
		.amdhsa_reserve_flat_scratch 0
		.amdhsa_float_round_mode_32 0
		.amdhsa_float_round_mode_16_64 0
		.amdhsa_float_denorm_mode_32 3
		.amdhsa_float_denorm_mode_16_64 3
		.amdhsa_dx10_clamp 1
		.amdhsa_ieee_mode 1
		.amdhsa_fp16_overflow 0
		.amdhsa_exception_fp_ieee_invalid_op 0
		.amdhsa_exception_fp_denorm_src 0
		.amdhsa_exception_fp_ieee_div_zero 0
		.amdhsa_exception_fp_ieee_overflow 0
		.amdhsa_exception_fp_ieee_underflow 0
		.amdhsa_exception_fp_ieee_inexact 0
		.amdhsa_exception_int_div_zero 0
	.end_amdhsa_kernel
	.section	.text._Z19reduce_valid_kernelILj192ELN6hipcub20BlockReduceAlgorithmE2EiEvPT1_S3_j,"axG",@progbits,_Z19reduce_valid_kernelILj192ELN6hipcub20BlockReduceAlgorithmE2EiEvPT1_S3_j,comdat
.Lfunc_end50:
	.size	_Z19reduce_valid_kernelILj192ELN6hipcub20BlockReduceAlgorithmE2EiEvPT1_S3_j, .Lfunc_end50-_Z19reduce_valid_kernelILj192ELN6hipcub20BlockReduceAlgorithmE2EiEvPT1_S3_j
                                        ; -- End function
	.set _Z19reduce_valid_kernelILj192ELN6hipcub20BlockReduceAlgorithmE2EiEvPT1_S3_j.num_vgpr, 6
	.set _Z19reduce_valid_kernelILj192ELN6hipcub20BlockReduceAlgorithmE2EiEvPT1_S3_j.num_agpr, 0
	.set _Z19reduce_valid_kernelILj192ELN6hipcub20BlockReduceAlgorithmE2EiEvPT1_S3_j.numbered_sgpr, 10
	.set _Z19reduce_valid_kernelILj192ELN6hipcub20BlockReduceAlgorithmE2EiEvPT1_S3_j.num_named_barrier, 0
	.set _Z19reduce_valid_kernelILj192ELN6hipcub20BlockReduceAlgorithmE2EiEvPT1_S3_j.private_seg_size, 0
	.set _Z19reduce_valid_kernelILj192ELN6hipcub20BlockReduceAlgorithmE2EiEvPT1_S3_j.uses_vcc, 1
	.set _Z19reduce_valid_kernelILj192ELN6hipcub20BlockReduceAlgorithmE2EiEvPT1_S3_j.uses_flat_scratch, 0
	.set _Z19reduce_valid_kernelILj192ELN6hipcub20BlockReduceAlgorithmE2EiEvPT1_S3_j.has_dyn_sized_stack, 0
	.set _Z19reduce_valid_kernelILj192ELN6hipcub20BlockReduceAlgorithmE2EiEvPT1_S3_j.has_recursion, 0
	.set _Z19reduce_valid_kernelILj192ELN6hipcub20BlockReduceAlgorithmE2EiEvPT1_S3_j.has_indirect_call, 0
	.section	.AMDGPU.csdata,"",@progbits
; Kernel info:
; codeLenInByte = 560
; TotalNumSgprs: 14
; NumVgprs: 6
; ScratchSize: 0
; MemoryBound: 0
; FloatMode: 240
; IeeeMode: 1
; LDSByteSize: 768 bytes/workgroup (compile time only)
; SGPRBlocks: 1
; VGPRBlocks: 1
; NumSGPRsForWavesPerEU: 14
; NumVGPRsForWavesPerEU: 6
; Occupancy: 10
; WaveLimiterHint : 0
; COMPUTE_PGM_RSRC2:SCRATCH_EN: 0
; COMPUTE_PGM_RSRC2:USER_SGPR: 6
; COMPUTE_PGM_RSRC2:TRAP_HANDLER: 0
; COMPUTE_PGM_RSRC2:TGID_X_EN: 1
; COMPUTE_PGM_RSRC2:TGID_Y_EN: 0
; COMPUTE_PGM_RSRC2:TGID_Z_EN: 0
; COMPUTE_PGM_RSRC2:TIDIG_COMP_CNT: 0
	.section	.text._Z19reduce_valid_kernelILj128ELN6hipcub20BlockReduceAlgorithmE2EiEvPT1_S3_j,"axG",@progbits,_Z19reduce_valid_kernelILj128ELN6hipcub20BlockReduceAlgorithmE2EiEvPT1_S3_j,comdat
	.protected	_Z19reduce_valid_kernelILj128ELN6hipcub20BlockReduceAlgorithmE2EiEvPT1_S3_j ; -- Begin function _Z19reduce_valid_kernelILj128ELN6hipcub20BlockReduceAlgorithmE2EiEvPT1_S3_j
	.globl	_Z19reduce_valid_kernelILj128ELN6hipcub20BlockReduceAlgorithmE2EiEvPT1_S3_j
	.p2align	8
	.type	_Z19reduce_valid_kernelILj128ELN6hipcub20BlockReduceAlgorithmE2EiEvPT1_S3_j,@function
_Z19reduce_valid_kernelILj128ELN6hipcub20BlockReduceAlgorithmE2EiEvPT1_S3_j: ; @_Z19reduce_valid_kernelILj128ELN6hipcub20BlockReduceAlgorithmE2EiEvPT1_S3_j
; %bb.0:
	s_load_dwordx4 s[0:3], s[4:5], 0x0
	s_load_dword s7, s[4:5], 0x10
	v_lshl_or_b32 v1, s6, 7, v0
	v_mov_b32_e32 v2, 0
	v_lshlrev_b64 v[1:2], 2, v[1:2]
	s_waitcnt lgkmcnt(0)
	v_mov_b32_e32 v3, s1
	v_add_co_u32_e32 v1, vcc, s0, v1
	v_addc_co_u32_e32 v2, vcc, v3, v2, vcc
	global_load_dword v1, v[1:2], off
	v_cmp_lt_u32_e32 vcc, 63, v0
	v_cmp_gt_u32_e64 s[0:1], s7, v0
	s_and_b64 s[4:5], vcc, s[0:1]
	s_and_saveexec_b64 s[0:1], s[4:5]
	s_cbranch_execz .LBB51_2
; %bb.1:
	v_lshlrev_b32_e32 v2, 2, v0
	s_waitcnt vmcnt(0)
	ds_write_b32 v2, v1
.LBB51_2:
	s_or_b64 exec, exec, s[0:1]
	v_cmp_gt_u32_e32 vcc, 64, v0
	s_waitcnt vmcnt(0) lgkmcnt(0)
	s_barrier
	s_and_saveexec_b64 s[0:1], vcc
	s_cbranch_execz .LBB51_8
; %bb.3:
	v_or_b32_e32 v2, 64, v0
	v_cmp_gt_u32_e32 vcc, s7, v2
	s_and_saveexec_b64 s[4:5], vcc
	s_cbranch_execz .LBB51_7
; %bb.4:
	v_mov_b32_e32 v3, 0x100
	v_lshl_add_u32 v3, v0, 2, v3
	s_mov_b64 s[8:9], 0
.LBB51_5:                               ; =>This Inner Loop Header: Depth=1
	ds_read_b32 v4, v3
	v_add_u32_e32 v2, 64, v2
	v_cmp_le_u32_e32 vcc, s7, v2
	v_add_u32_e32 v3, 0x100, v3
	s_or_b64 s[8:9], vcc, s[8:9]
	s_waitcnt lgkmcnt(0)
	v_add_u32_e32 v1, v4, v1
	s_andn2_b64 exec, exec, s[8:9]
	s_cbranch_execnz .LBB51_5
; %bb.6:
	s_or_b64 exec, exec, s[8:9]
.LBB51_7:
	s_or_b64 exec, exec, s[4:5]
	v_mbcnt_lo_u32_b32 v2, -1, 0
	v_mbcnt_hi_u32_b32 v2, -1, v2
	v_and_b32_e32 v3, 63, v2
	v_cmp_ne_u32_e32 vcc, 63, v3
	v_addc_co_u32_e32 v4, vcc, 0, v2, vcc
	v_lshlrev_b32_e32 v4, 2, v4
	ds_bpermute_b32 v4, v4, v1
	v_add_u32_e32 v5, 1, v2
	v_cmp_gt_u32_e32 vcc, s7, v5
	v_add_u32_e32 v5, 2, v2
	s_waitcnt lgkmcnt(0)
	v_cndmask_b32_e32 v4, 0, v4, vcc
	v_cmp_gt_u32_e32 vcc, 62, v3
	v_add_u32_e32 v1, v4, v1
	v_cndmask_b32_e64 v4, 0, 2, vcc
	v_add_lshl_u32 v4, v4, v2, 2
	ds_bpermute_b32 v4, v4, v1
	v_cmp_gt_u32_e32 vcc, s7, v5
	v_add_u32_e32 v5, 4, v2
	s_waitcnt lgkmcnt(0)
	v_cndmask_b32_e32 v4, 0, v4, vcc
	v_cmp_gt_u32_e32 vcc, 60, v3
	v_add_u32_e32 v1, v1, v4
	v_cndmask_b32_e64 v4, 0, 4, vcc
	v_add_lshl_u32 v4, v4, v2, 2
	ds_bpermute_b32 v4, v4, v1
	;; [unrolled: 9-line block ×3, first 2 shown]
	v_cmp_gt_u32_e32 vcc, s7, v5
	s_waitcnt lgkmcnt(0)
	v_cndmask_b32_e32 v4, 0, v4, vcc
	v_cmp_gt_u32_e32 vcc, 48, v3
	v_cndmask_b32_e64 v3, 0, 16, vcc
	v_add_u32_e32 v1, v1, v4
	v_add_lshl_u32 v3, v3, v2, 2
	ds_bpermute_b32 v3, v3, v1
	v_add_u32_e32 v4, 16, v2
	v_cmp_gt_u32_e32 vcc, s7, v4
	s_waitcnt lgkmcnt(0)
	v_cndmask_b32_e32 v3, 0, v3, vcc
	v_add_u32_e32 v1, v1, v3
	v_mov_b32_e32 v3, 0x80
	v_lshl_or_b32 v3, v2, 2, v3
	ds_bpermute_b32 v3, v3, v1
	v_add_u32_e32 v2, 32, v2
	v_cmp_gt_u32_e32 vcc, s7, v2
	s_waitcnt lgkmcnt(0)
	v_cndmask_b32_e32 v2, 0, v3, vcc
	v_add_u32_e32 v1, v1, v2
.LBB51_8:
	s_or_b64 exec, exec, s[0:1]
	s_mov_b32 s7, 0
	v_cmp_eq_u32_e32 vcc, 0, v0
	s_and_saveexec_b64 s[0:1], vcc
	s_cbranch_execz .LBB51_10
; %bb.9:
	s_lshl_b64 s[0:1], s[6:7], 2
	s_add_u32 s0, s2, s0
	s_addc_u32 s1, s3, s1
	v_mov_b32_e32 v0, 0
	global_store_dword v0, v1, s[0:1]
.LBB51_10:
	s_endpgm
	.section	.rodata,"a",@progbits
	.p2align	6, 0x0
	.amdhsa_kernel _Z19reduce_valid_kernelILj128ELN6hipcub20BlockReduceAlgorithmE2EiEvPT1_S3_j
		.amdhsa_group_segment_fixed_size 512
		.amdhsa_private_segment_fixed_size 0
		.amdhsa_kernarg_size 20
		.amdhsa_user_sgpr_count 6
		.amdhsa_user_sgpr_private_segment_buffer 1
		.amdhsa_user_sgpr_dispatch_ptr 0
		.amdhsa_user_sgpr_queue_ptr 0
		.amdhsa_user_sgpr_kernarg_segment_ptr 1
		.amdhsa_user_sgpr_dispatch_id 0
		.amdhsa_user_sgpr_flat_scratch_init 0
		.amdhsa_user_sgpr_private_segment_size 0
		.amdhsa_uses_dynamic_stack 0
		.amdhsa_system_sgpr_private_segment_wavefront_offset 0
		.amdhsa_system_sgpr_workgroup_id_x 1
		.amdhsa_system_sgpr_workgroup_id_y 0
		.amdhsa_system_sgpr_workgroup_id_z 0
		.amdhsa_system_sgpr_workgroup_info 0
		.amdhsa_system_vgpr_workitem_id 0
		.amdhsa_next_free_vgpr 6
		.amdhsa_next_free_sgpr 10
		.amdhsa_reserve_vcc 1
		.amdhsa_reserve_flat_scratch 0
		.amdhsa_float_round_mode_32 0
		.amdhsa_float_round_mode_16_64 0
		.amdhsa_float_denorm_mode_32 3
		.amdhsa_float_denorm_mode_16_64 3
		.amdhsa_dx10_clamp 1
		.amdhsa_ieee_mode 1
		.amdhsa_fp16_overflow 0
		.amdhsa_exception_fp_ieee_invalid_op 0
		.amdhsa_exception_fp_denorm_src 0
		.amdhsa_exception_fp_ieee_div_zero 0
		.amdhsa_exception_fp_ieee_overflow 0
		.amdhsa_exception_fp_ieee_underflow 0
		.amdhsa_exception_fp_ieee_inexact 0
		.amdhsa_exception_int_div_zero 0
	.end_amdhsa_kernel
	.section	.text._Z19reduce_valid_kernelILj128ELN6hipcub20BlockReduceAlgorithmE2EiEvPT1_S3_j,"axG",@progbits,_Z19reduce_valid_kernelILj128ELN6hipcub20BlockReduceAlgorithmE2EiEvPT1_S3_j,comdat
.Lfunc_end51:
	.size	_Z19reduce_valid_kernelILj128ELN6hipcub20BlockReduceAlgorithmE2EiEvPT1_S3_j, .Lfunc_end51-_Z19reduce_valid_kernelILj128ELN6hipcub20BlockReduceAlgorithmE2EiEvPT1_S3_j
                                        ; -- End function
	.set _Z19reduce_valid_kernelILj128ELN6hipcub20BlockReduceAlgorithmE2EiEvPT1_S3_j.num_vgpr, 6
	.set _Z19reduce_valid_kernelILj128ELN6hipcub20BlockReduceAlgorithmE2EiEvPT1_S3_j.num_agpr, 0
	.set _Z19reduce_valid_kernelILj128ELN6hipcub20BlockReduceAlgorithmE2EiEvPT1_S3_j.numbered_sgpr, 10
	.set _Z19reduce_valid_kernelILj128ELN6hipcub20BlockReduceAlgorithmE2EiEvPT1_S3_j.num_named_barrier, 0
	.set _Z19reduce_valid_kernelILj128ELN6hipcub20BlockReduceAlgorithmE2EiEvPT1_S3_j.private_seg_size, 0
	.set _Z19reduce_valid_kernelILj128ELN6hipcub20BlockReduceAlgorithmE2EiEvPT1_S3_j.uses_vcc, 1
	.set _Z19reduce_valid_kernelILj128ELN6hipcub20BlockReduceAlgorithmE2EiEvPT1_S3_j.uses_flat_scratch, 0
	.set _Z19reduce_valid_kernelILj128ELN6hipcub20BlockReduceAlgorithmE2EiEvPT1_S3_j.has_dyn_sized_stack, 0
	.set _Z19reduce_valid_kernelILj128ELN6hipcub20BlockReduceAlgorithmE2EiEvPT1_S3_j.has_recursion, 0
	.set _Z19reduce_valid_kernelILj128ELN6hipcub20BlockReduceAlgorithmE2EiEvPT1_S3_j.has_indirect_call, 0
	.section	.AMDGPU.csdata,"",@progbits
; Kernel info:
; codeLenInByte = 556
; TotalNumSgprs: 14
; NumVgprs: 6
; ScratchSize: 0
; MemoryBound: 0
; FloatMode: 240
; IeeeMode: 1
; LDSByteSize: 512 bytes/workgroup (compile time only)
; SGPRBlocks: 1
; VGPRBlocks: 1
; NumSGPRsForWavesPerEU: 14
; NumVGPRsForWavesPerEU: 6
; Occupancy: 10
; WaveLimiterHint : 0
; COMPUTE_PGM_RSRC2:SCRATCH_EN: 0
; COMPUTE_PGM_RSRC2:USER_SGPR: 6
; COMPUTE_PGM_RSRC2:TRAP_HANDLER: 0
; COMPUTE_PGM_RSRC2:TGID_X_EN: 1
; COMPUTE_PGM_RSRC2:TGID_Y_EN: 0
; COMPUTE_PGM_RSRC2:TGID_Z_EN: 0
; COMPUTE_PGM_RSRC2:TIDIG_COMP_CNT: 0
	.section	.text._Z19reduce_valid_kernelILj64ELN6hipcub20BlockReduceAlgorithmE2EiEvPT1_S3_j,"axG",@progbits,_Z19reduce_valid_kernelILj64ELN6hipcub20BlockReduceAlgorithmE2EiEvPT1_S3_j,comdat
	.protected	_Z19reduce_valid_kernelILj64ELN6hipcub20BlockReduceAlgorithmE2EiEvPT1_S3_j ; -- Begin function _Z19reduce_valid_kernelILj64ELN6hipcub20BlockReduceAlgorithmE2EiEvPT1_S3_j
	.globl	_Z19reduce_valid_kernelILj64ELN6hipcub20BlockReduceAlgorithmE2EiEvPT1_S3_j
	.p2align	8
	.type	_Z19reduce_valid_kernelILj64ELN6hipcub20BlockReduceAlgorithmE2EiEvPT1_S3_j,@function
_Z19reduce_valid_kernelILj64ELN6hipcub20BlockReduceAlgorithmE2EiEvPT1_S3_j: ; @_Z19reduce_valid_kernelILj64ELN6hipcub20BlockReduceAlgorithmE2EiEvPT1_S3_j
; %bb.0:
	s_load_dwordx4 s[0:3], s[4:5], 0x0
	s_load_dword s7, s[4:5], 0x10
	v_lshl_or_b32 v1, s6, 6, v0
	v_mov_b32_e32 v2, 0
	v_lshlrev_b64 v[1:2], 2, v[1:2]
	s_waitcnt lgkmcnt(0)
	v_mov_b32_e32 v3, s1
	v_add_co_u32_e32 v1, vcc, s0, v1
	v_addc_co_u32_e32 v2, vcc, v3, v2, vcc
	global_load_dword v1, v[1:2], off
	v_cmp_lt_u32_e32 vcc, 63, v0
	v_cmp_gt_u32_e64 s[0:1], s7, v0
	s_and_b64 s[4:5], vcc, s[0:1]
	s_and_saveexec_b64 s[0:1], s[4:5]
	s_cbranch_execz .LBB52_2
; %bb.1:
	v_lshlrev_b32_e32 v2, 2, v0
	s_waitcnt vmcnt(0)
	ds_write_b32 v2, v1
.LBB52_2:
	s_or_b64 exec, exec, s[0:1]
	v_cmp_gt_u32_e32 vcc, 64, v0
	s_waitcnt lgkmcnt(0)
	; wave barrier
	s_and_saveexec_b64 s[0:1], vcc
	s_cbranch_execz .LBB52_8
; %bb.3:
	v_or_b32_e32 v2, 64, v0
	v_cmp_gt_u32_e32 vcc, s7, v2
	s_and_saveexec_b64 s[4:5], vcc
	s_cbranch_execz .LBB52_7
; %bb.4:
	v_mov_b32_e32 v3, 0x100
	v_lshl_or_b32 v3, v0, 2, v3
	s_mov_b64 s[8:9], 0
.LBB52_5:                               ; =>This Inner Loop Header: Depth=1
	ds_read_b32 v4, v3
	v_add_u32_e32 v2, 64, v2
	v_cmp_le_u32_e32 vcc, s7, v2
	v_add_u32_e32 v3, 0x100, v3
	s_or_b64 s[8:9], vcc, s[8:9]
	s_waitcnt vmcnt(0) lgkmcnt(0)
	v_add_u32_e32 v1, v4, v1
	s_andn2_b64 exec, exec, s[8:9]
	s_cbranch_execnz .LBB52_5
; %bb.6:
	s_or_b64 exec, exec, s[8:9]
.LBB52_7:
	s_or_b64 exec, exec, s[4:5]
	v_mbcnt_lo_u32_b32 v2, -1, 0
	v_mbcnt_hi_u32_b32 v2, -1, v2
	v_and_b32_e32 v3, 63, v2
	v_cmp_ne_u32_e32 vcc, 63, v3
	v_addc_co_u32_e32 v4, vcc, 0, v2, vcc
	v_lshlrev_b32_e32 v4, 2, v4
	s_waitcnt vmcnt(0)
	ds_bpermute_b32 v4, v4, v1
	v_add_u32_e32 v5, 1, v2
	v_cmp_gt_u32_e32 vcc, s7, v5
	v_add_u32_e32 v5, 2, v2
	s_waitcnt lgkmcnt(0)
	v_cndmask_b32_e32 v4, 0, v4, vcc
	v_cmp_gt_u32_e32 vcc, 62, v3
	v_add_u32_e32 v1, v4, v1
	v_cndmask_b32_e64 v4, 0, 2, vcc
	v_add_lshl_u32 v4, v4, v2, 2
	ds_bpermute_b32 v4, v4, v1
	v_cmp_gt_u32_e32 vcc, s7, v5
	v_add_u32_e32 v5, 4, v2
	s_waitcnt lgkmcnt(0)
	v_cndmask_b32_e32 v4, 0, v4, vcc
	v_cmp_gt_u32_e32 vcc, 60, v3
	v_add_u32_e32 v1, v1, v4
	v_cndmask_b32_e64 v4, 0, 4, vcc
	v_add_lshl_u32 v4, v4, v2, 2
	ds_bpermute_b32 v4, v4, v1
	;; [unrolled: 9-line block ×3, first 2 shown]
	v_cmp_gt_u32_e32 vcc, s7, v5
	s_waitcnt lgkmcnt(0)
	v_cndmask_b32_e32 v4, 0, v4, vcc
	v_cmp_gt_u32_e32 vcc, 48, v3
	v_cndmask_b32_e64 v3, 0, 16, vcc
	v_add_u32_e32 v1, v1, v4
	v_add_lshl_u32 v3, v3, v2, 2
	ds_bpermute_b32 v3, v3, v1
	v_add_u32_e32 v4, 16, v2
	v_cmp_gt_u32_e32 vcc, s7, v4
	s_waitcnt lgkmcnt(0)
	v_cndmask_b32_e32 v3, 0, v3, vcc
	v_add_u32_e32 v1, v1, v3
	v_mov_b32_e32 v3, 0x80
	v_lshl_or_b32 v3, v2, 2, v3
	ds_bpermute_b32 v3, v3, v1
	v_add_u32_e32 v2, 32, v2
	v_cmp_gt_u32_e32 vcc, s7, v2
	s_waitcnt lgkmcnt(0)
	v_cndmask_b32_e32 v2, 0, v3, vcc
	v_add_u32_e32 v1, v1, v2
.LBB52_8:
	s_or_b64 exec, exec, s[0:1]
	s_mov_b32 s7, 0
	v_cmp_eq_u32_e32 vcc, 0, v0
	s_and_saveexec_b64 s[0:1], vcc
	s_cbranch_execz .LBB52_10
; %bb.9:
	s_lshl_b64 s[0:1], s[6:7], 2
	s_add_u32 s0, s2, s0
	s_addc_u32 s1, s3, s1
	v_mov_b32_e32 v0, 0
	s_waitcnt vmcnt(0)
	global_store_dword v0, v1, s[0:1]
.LBB52_10:
	s_endpgm
	.section	.rodata,"a",@progbits
	.p2align	6, 0x0
	.amdhsa_kernel _Z19reduce_valid_kernelILj64ELN6hipcub20BlockReduceAlgorithmE2EiEvPT1_S3_j
		.amdhsa_group_segment_fixed_size 256
		.amdhsa_private_segment_fixed_size 0
		.amdhsa_kernarg_size 20
		.amdhsa_user_sgpr_count 6
		.amdhsa_user_sgpr_private_segment_buffer 1
		.amdhsa_user_sgpr_dispatch_ptr 0
		.amdhsa_user_sgpr_queue_ptr 0
		.amdhsa_user_sgpr_kernarg_segment_ptr 1
		.amdhsa_user_sgpr_dispatch_id 0
		.amdhsa_user_sgpr_flat_scratch_init 0
		.amdhsa_user_sgpr_private_segment_size 0
		.amdhsa_uses_dynamic_stack 0
		.amdhsa_system_sgpr_private_segment_wavefront_offset 0
		.amdhsa_system_sgpr_workgroup_id_x 1
		.amdhsa_system_sgpr_workgroup_id_y 0
		.amdhsa_system_sgpr_workgroup_id_z 0
		.amdhsa_system_sgpr_workgroup_info 0
		.amdhsa_system_vgpr_workitem_id 0
		.amdhsa_next_free_vgpr 6
		.amdhsa_next_free_sgpr 10
		.amdhsa_reserve_vcc 1
		.amdhsa_reserve_flat_scratch 0
		.amdhsa_float_round_mode_32 0
		.amdhsa_float_round_mode_16_64 0
		.amdhsa_float_denorm_mode_32 3
		.amdhsa_float_denorm_mode_16_64 3
		.amdhsa_dx10_clamp 1
		.amdhsa_ieee_mode 1
		.amdhsa_fp16_overflow 0
		.amdhsa_exception_fp_ieee_invalid_op 0
		.amdhsa_exception_fp_denorm_src 0
		.amdhsa_exception_fp_ieee_div_zero 0
		.amdhsa_exception_fp_ieee_overflow 0
		.amdhsa_exception_fp_ieee_underflow 0
		.amdhsa_exception_fp_ieee_inexact 0
		.amdhsa_exception_int_div_zero 0
	.end_amdhsa_kernel
	.section	.text._Z19reduce_valid_kernelILj64ELN6hipcub20BlockReduceAlgorithmE2EiEvPT1_S3_j,"axG",@progbits,_Z19reduce_valid_kernelILj64ELN6hipcub20BlockReduceAlgorithmE2EiEvPT1_S3_j,comdat
.Lfunc_end52:
	.size	_Z19reduce_valid_kernelILj64ELN6hipcub20BlockReduceAlgorithmE2EiEvPT1_S3_j, .Lfunc_end52-_Z19reduce_valid_kernelILj64ELN6hipcub20BlockReduceAlgorithmE2EiEvPT1_S3_j
                                        ; -- End function
	.set _Z19reduce_valid_kernelILj64ELN6hipcub20BlockReduceAlgorithmE2EiEvPT1_S3_j.num_vgpr, 6
	.set _Z19reduce_valid_kernelILj64ELN6hipcub20BlockReduceAlgorithmE2EiEvPT1_S3_j.num_agpr, 0
	.set _Z19reduce_valid_kernelILj64ELN6hipcub20BlockReduceAlgorithmE2EiEvPT1_S3_j.numbered_sgpr, 10
	.set _Z19reduce_valid_kernelILj64ELN6hipcub20BlockReduceAlgorithmE2EiEvPT1_S3_j.num_named_barrier, 0
	.set _Z19reduce_valid_kernelILj64ELN6hipcub20BlockReduceAlgorithmE2EiEvPT1_S3_j.private_seg_size, 0
	.set _Z19reduce_valid_kernelILj64ELN6hipcub20BlockReduceAlgorithmE2EiEvPT1_S3_j.uses_vcc, 1
	.set _Z19reduce_valid_kernelILj64ELN6hipcub20BlockReduceAlgorithmE2EiEvPT1_S3_j.uses_flat_scratch, 0
	.set _Z19reduce_valid_kernelILj64ELN6hipcub20BlockReduceAlgorithmE2EiEvPT1_S3_j.has_dyn_sized_stack, 0
	.set _Z19reduce_valid_kernelILj64ELN6hipcub20BlockReduceAlgorithmE2EiEvPT1_S3_j.has_recursion, 0
	.set _Z19reduce_valid_kernelILj64ELN6hipcub20BlockReduceAlgorithmE2EiEvPT1_S3_j.has_indirect_call, 0
	.section	.AMDGPU.csdata,"",@progbits
; Kernel info:
; codeLenInByte = 560
; TotalNumSgprs: 14
; NumVgprs: 6
; ScratchSize: 0
; MemoryBound: 0
; FloatMode: 240
; IeeeMode: 1
; LDSByteSize: 256 bytes/workgroup (compile time only)
; SGPRBlocks: 1
; VGPRBlocks: 1
; NumSGPRsForWavesPerEU: 14
; NumVGPRsForWavesPerEU: 6
; Occupancy: 10
; WaveLimiterHint : 0
; COMPUTE_PGM_RSRC2:SCRATCH_EN: 0
; COMPUTE_PGM_RSRC2:USER_SGPR: 6
; COMPUTE_PGM_RSRC2:TRAP_HANDLER: 0
; COMPUTE_PGM_RSRC2:TGID_X_EN: 1
; COMPUTE_PGM_RSRC2:TGID_Y_EN: 0
; COMPUTE_PGM_RSRC2:TGID_Z_EN: 0
; COMPUTE_PGM_RSRC2:TIDIG_COMP_CNT: 0
	.section	.text._Z19reduce_valid_kernelILj377ELN6hipcub20BlockReduceAlgorithmE1EhEvPT1_S3_j,"axG",@progbits,_Z19reduce_valid_kernelILj377ELN6hipcub20BlockReduceAlgorithmE1EhEvPT1_S3_j,comdat
	.protected	_Z19reduce_valid_kernelILj377ELN6hipcub20BlockReduceAlgorithmE1EhEvPT1_S3_j ; -- Begin function _Z19reduce_valid_kernelILj377ELN6hipcub20BlockReduceAlgorithmE1EhEvPT1_S3_j
	.globl	_Z19reduce_valid_kernelILj377ELN6hipcub20BlockReduceAlgorithmE1EhEvPT1_S3_j
	.p2align	8
	.type	_Z19reduce_valid_kernelILj377ELN6hipcub20BlockReduceAlgorithmE1EhEvPT1_S3_j,@function
_Z19reduce_valid_kernelILj377ELN6hipcub20BlockReduceAlgorithmE1EhEvPT1_S3_j: ; @_Z19reduce_valid_kernelILj377ELN6hipcub20BlockReduceAlgorithmE1EhEvPT1_S3_j
; %bb.0:
	s_load_dwordx4 s[8:11], s[4:5], 0x0
	s_load_dword s2, s[4:5], 0x10
	s_mul_i32 s0, s6, 0x179
	v_add_u32_e32 v1, s0, v0
	s_waitcnt lgkmcnt(0)
	global_load_ubyte v1, v1, s[8:9]
	v_cmp_gt_u32_e32 vcc, s2, v0
	s_and_saveexec_b64 s[0:1], vcc
	s_cbranch_execz .LBB53_2
; %bb.1:
	s_waitcnt vmcnt(0)
	ds_write_b8 v0, v1
.LBB53_2:
	s_or_b64 exec, exec, s[0:1]
	v_mul_u32_u24_e32 v2, 6, v0
	v_cmp_gt_u32_e32 vcc, s2, v2
	s_waitcnt vmcnt(0) lgkmcnt(0)
	s_barrier
	s_and_saveexec_b64 s[8:9], vcc
	s_cbranch_execnz .LBB53_5
; %bb.3:
	s_or_b64 exec, exec, s[8:9]
	v_cmp_eq_u32_e32 vcc, 0, v0
	s_and_saveexec_b64 s[0:1], vcc
	s_cbranch_execnz .LBB53_16
.LBB53_4:
	s_endpgm
.LBB53_5:
	ds_read_u8 v1, v2
	v_or_b32_e32 v3, 1, v2
	v_cmp_gt_u32_e32 vcc, s2, v3
	s_and_saveexec_b64 s[0:1], vcc
	s_cbranch_execz .LBB53_7
; %bb.6:
	ds_read_u8 v3, v2 offset:1
	s_waitcnt lgkmcnt(0)
	v_add_u16_e32 v1, v3, v1
.LBB53_7:
	s_or_b64 exec, exec, s[0:1]
	v_add_u32_e32 v3, 2, v2
	v_cmp_gt_u32_e32 vcc, s2, v3
	s_and_saveexec_b64 s[0:1], vcc
	s_cbranch_execz .LBB53_9
; %bb.8:
	ds_read_u8 v3, v2 offset:2
	s_waitcnt lgkmcnt(0)
	v_add_u16_e32 v1, v3, v1
.LBB53_9:
	s_or_b64 exec, exec, s[0:1]
	v_add_u32_e32 v3, 3, v2
	;; [unrolled: 10-line block ×4, first 2 shown]
	v_cmp_gt_u32_e32 vcc, s2, v3
	s_and_saveexec_b64 s[0:1], vcc
	s_cbranch_execz .LBB53_15
; %bb.14:
	ds_read_u8 v2, v2 offset:5
	s_waitcnt lgkmcnt(0)
	v_add_u16_e32 v1, v2, v1
.LBB53_15:
	s_or_b64 exec, exec, s[0:1]
	v_mbcnt_lo_u32_b32 v2, -1, 0
	v_mbcnt_hi_u32_b32 v2, -1, v2
	v_and_b32_e32 v3, 63, v2
	v_cmp_ne_u32_e32 vcc, 63, v3
	v_addc_co_u32_e32 v4, vcc, 0, v2, vcc
	v_lshlrev_b32_e32 v4, 2, v4
	s_waitcnt lgkmcnt(0)
	v_and_b32_e32 v5, 0xff, v1
	ds_bpermute_b32 v4, v4, v5
	s_add_i32 s2, s2, 5
	s_mul_hi_u32 s0, s2, 0xaaaaaaab
	s_lshr_b32 s7, s0, 2
	v_add_u32_e32 v6, 1, v2
	s_waitcnt lgkmcnt(0)
	v_add_u16_e32 v4, v1, v4
	v_cmp_gt_u32_e64 s[0:1], 62, v3
	v_and_b32_e32 v7, 0xff, v4
	v_cmp_gt_u32_e32 vcc, s7, v6
	v_cndmask_b32_e64 v6, 0, 2, s[0:1]
	v_cndmask_b32_e32 v5, v5, v7, vcc
	v_add_lshl_u32 v6, v6, v2, 2
	ds_bpermute_b32 v6, v6, v5
	v_cndmask_b32_e32 v4, v1, v4, vcc
	v_add_u32_e32 v7, 2, v2
	v_cmp_gt_u32_e64 s[2:3], 60, v3
	v_cmp_gt_u32_e64 s[0:1], s7, v7
	s_waitcnt lgkmcnt(0)
	v_add_u16_e32 v6, v4, v6
	v_and_b32_e32 v8, 0xff, v6
	v_cndmask_b32_e64 v7, 0, 4, s[2:3]
	v_cndmask_b32_e64 v5, v5, v8, s[0:1]
	v_add_lshl_u32 v7, v7, v2, 2
	ds_bpermute_b32 v7, v7, v5
	v_cndmask_b32_e64 v4, v4, v6, s[0:1]
	v_add_u32_e32 v6, 4, v2
	v_cmp_gt_u32_e64 s[4:5], 56, v3
	v_cmp_gt_u32_e64 s[2:3], s7, v6
	s_waitcnt lgkmcnt(0)
	v_add_u16_e32 v7, v4, v7
	v_and_b32_e32 v8, 0xff, v7
	v_cndmask_b32_e64 v6, 0, 8, s[4:5]
	v_cndmask_b32_e64 v5, v5, v8, s[2:3]
	v_add_lshl_u32 v6, v6, v2, 2
	ds_bpermute_b32 v6, v6, v5
	v_cndmask_b32_e64 v4, v4, v7, s[2:3]
	s_or_b64 s[4:5], vcc, s[0:1]
	v_add_u32_e32 v7, 8, v2
	v_cmp_gt_u32_e64 s[0:1], 48, v3
	s_waitcnt lgkmcnt(0)
	v_add_u16_e32 v6, v4, v6
	v_and_b32_e32 v8, 0xff, v6
	v_cmp_gt_u32_e32 vcc, s7, v7
	v_cndmask_b32_e64 v3, 0, 16, s[0:1]
	v_cndmask_b32_e32 v5, v5, v8, vcc
	v_add_lshl_u32 v3, v3, v2, 2
	ds_bpermute_b32 v3, v3, v5
	v_cndmask_b32_e32 v4, v4, v6, vcc
	s_or_b64 s[0:1], s[2:3], s[4:5]
	v_add_u32_e32 v6, 16, v2
	s_or_b64 s[0:1], vcc, s[0:1]
	s_waitcnt lgkmcnt(0)
	v_add_u16_e32 v3, v4, v3
	v_and_b32_e32 v7, 0xff, v3
	v_cmp_gt_u32_e32 vcc, s7, v6
	v_mov_b32_e32 v6, 0x80
	v_cndmask_b32_e32 v5, v5, v7, vcc
	v_lshl_or_b32 v6, v2, 2, v6
	ds_bpermute_b32 v5, v6, v5
	v_add_u32_e32 v2, 32, v2
	s_or_b64 s[0:1], vcc, s[0:1]
	v_cndmask_b32_e32 v3, v4, v3, vcc
	v_cmp_gt_u32_e32 vcc, s7, v2
	s_waitcnt lgkmcnt(0)
	v_cndmask_b32_e32 v2, 0, v5, vcc
	v_add_u16_e32 v2, v3, v2
	s_or_b64 vcc, vcc, s[0:1]
	v_cndmask_b32_e32 v1, v1, v2, vcc
	s_or_b64 exec, exec, s[8:9]
	v_cmp_eq_u32_e32 vcc, 0, v0
	s_and_saveexec_b64 s[0:1], vcc
	s_cbranch_execz .LBB53_4
.LBB53_16:
	v_mov_b32_e32 v0, s6
	global_store_byte v0, v1, s[10:11]
	s_endpgm
	.section	.rodata,"a",@progbits
	.p2align	6, 0x0
	.amdhsa_kernel _Z19reduce_valid_kernelILj377ELN6hipcub20BlockReduceAlgorithmE1EhEvPT1_S3_j
		.amdhsa_group_segment_fixed_size 377
		.amdhsa_private_segment_fixed_size 0
		.amdhsa_kernarg_size 20
		.amdhsa_user_sgpr_count 6
		.amdhsa_user_sgpr_private_segment_buffer 1
		.amdhsa_user_sgpr_dispatch_ptr 0
		.amdhsa_user_sgpr_queue_ptr 0
		.amdhsa_user_sgpr_kernarg_segment_ptr 1
		.amdhsa_user_sgpr_dispatch_id 0
		.amdhsa_user_sgpr_flat_scratch_init 0
		.amdhsa_user_sgpr_private_segment_size 0
		.amdhsa_uses_dynamic_stack 0
		.amdhsa_system_sgpr_private_segment_wavefront_offset 0
		.amdhsa_system_sgpr_workgroup_id_x 1
		.amdhsa_system_sgpr_workgroup_id_y 0
		.amdhsa_system_sgpr_workgroup_id_z 0
		.amdhsa_system_sgpr_workgroup_info 0
		.amdhsa_system_vgpr_workitem_id 0
		.amdhsa_next_free_vgpr 9
		.amdhsa_next_free_sgpr 12
		.amdhsa_reserve_vcc 1
		.amdhsa_reserve_flat_scratch 0
		.amdhsa_float_round_mode_32 0
		.amdhsa_float_round_mode_16_64 0
		.amdhsa_float_denorm_mode_32 3
		.amdhsa_float_denorm_mode_16_64 3
		.amdhsa_dx10_clamp 1
		.amdhsa_ieee_mode 1
		.amdhsa_fp16_overflow 0
		.amdhsa_exception_fp_ieee_invalid_op 0
		.amdhsa_exception_fp_denorm_src 0
		.amdhsa_exception_fp_ieee_div_zero 0
		.amdhsa_exception_fp_ieee_overflow 0
		.amdhsa_exception_fp_ieee_underflow 0
		.amdhsa_exception_fp_ieee_inexact 0
		.amdhsa_exception_int_div_zero 0
	.end_amdhsa_kernel
	.section	.text._Z19reduce_valid_kernelILj377ELN6hipcub20BlockReduceAlgorithmE1EhEvPT1_S3_j,"axG",@progbits,_Z19reduce_valid_kernelILj377ELN6hipcub20BlockReduceAlgorithmE1EhEvPT1_S3_j,comdat
.Lfunc_end53:
	.size	_Z19reduce_valid_kernelILj377ELN6hipcub20BlockReduceAlgorithmE1EhEvPT1_S3_j, .Lfunc_end53-_Z19reduce_valid_kernelILj377ELN6hipcub20BlockReduceAlgorithmE1EhEvPT1_S3_j
                                        ; -- End function
	.set _Z19reduce_valid_kernelILj377ELN6hipcub20BlockReduceAlgorithmE1EhEvPT1_S3_j.num_vgpr, 9
	.set _Z19reduce_valid_kernelILj377ELN6hipcub20BlockReduceAlgorithmE1EhEvPT1_S3_j.num_agpr, 0
	.set _Z19reduce_valid_kernelILj377ELN6hipcub20BlockReduceAlgorithmE1EhEvPT1_S3_j.numbered_sgpr, 12
	.set _Z19reduce_valid_kernelILj377ELN6hipcub20BlockReduceAlgorithmE1EhEvPT1_S3_j.num_named_barrier, 0
	.set _Z19reduce_valid_kernelILj377ELN6hipcub20BlockReduceAlgorithmE1EhEvPT1_S3_j.private_seg_size, 0
	.set _Z19reduce_valid_kernelILj377ELN6hipcub20BlockReduceAlgorithmE1EhEvPT1_S3_j.uses_vcc, 1
	.set _Z19reduce_valid_kernelILj377ELN6hipcub20BlockReduceAlgorithmE1EhEvPT1_S3_j.uses_flat_scratch, 0
	.set _Z19reduce_valid_kernelILj377ELN6hipcub20BlockReduceAlgorithmE1EhEvPT1_S3_j.has_dyn_sized_stack, 0
	.set _Z19reduce_valid_kernelILj377ELN6hipcub20BlockReduceAlgorithmE1EhEvPT1_S3_j.has_recursion, 0
	.set _Z19reduce_valid_kernelILj377ELN6hipcub20BlockReduceAlgorithmE1EhEvPT1_S3_j.has_indirect_call, 0
	.section	.AMDGPU.csdata,"",@progbits
; Kernel info:
; codeLenInByte = 780
; TotalNumSgprs: 16
; NumVgprs: 9
; ScratchSize: 0
; MemoryBound: 0
; FloatMode: 240
; IeeeMode: 1
; LDSByteSize: 377 bytes/workgroup (compile time only)
; SGPRBlocks: 1
; VGPRBlocks: 2
; NumSGPRsForWavesPerEU: 16
; NumVGPRsForWavesPerEU: 9
; Occupancy: 10
; WaveLimiterHint : 0
; COMPUTE_PGM_RSRC2:SCRATCH_EN: 0
; COMPUTE_PGM_RSRC2:USER_SGPR: 6
; COMPUTE_PGM_RSRC2:TRAP_HANDLER: 0
; COMPUTE_PGM_RSRC2:TGID_X_EN: 1
; COMPUTE_PGM_RSRC2:TGID_Y_EN: 0
; COMPUTE_PGM_RSRC2:TGID_Z_EN: 0
; COMPUTE_PGM_RSRC2:TIDIG_COMP_CNT: 0
	.section	.text._Z19reduce_valid_kernelILj377ELN6hipcub20BlockReduceAlgorithmE1EiEvPT1_S3_j,"axG",@progbits,_Z19reduce_valid_kernelILj377ELN6hipcub20BlockReduceAlgorithmE1EiEvPT1_S3_j,comdat
	.protected	_Z19reduce_valid_kernelILj377ELN6hipcub20BlockReduceAlgorithmE1EiEvPT1_S3_j ; -- Begin function _Z19reduce_valid_kernelILj377ELN6hipcub20BlockReduceAlgorithmE1EiEvPT1_S3_j
	.globl	_Z19reduce_valid_kernelILj377ELN6hipcub20BlockReduceAlgorithmE1EiEvPT1_S3_j
	.p2align	8
	.type	_Z19reduce_valid_kernelILj377ELN6hipcub20BlockReduceAlgorithmE1EiEvPT1_S3_j,@function
_Z19reduce_valid_kernelILj377ELN6hipcub20BlockReduceAlgorithmE1EiEvPT1_S3_j: ; @_Z19reduce_valid_kernelILj377ELN6hipcub20BlockReduceAlgorithmE1EiEvPT1_S3_j
; %bb.0:
	s_load_dwordx4 s[0:3], s[4:5], 0x0
	s_load_dword s7, s[4:5], 0x10
	s_mul_i32 s4, s6, 0x179
	v_add_u32_e32 v1, s4, v0
	v_mov_b32_e32 v2, 0
	v_lshlrev_b64 v[1:2], 2, v[1:2]
	s_waitcnt lgkmcnt(0)
	v_mov_b32_e32 v3, s1
	v_add_co_u32_e32 v1, vcc, s0, v1
	v_addc_co_u32_e32 v2, vcc, v3, v2, vcc
	global_load_dword v1, v[1:2], off
	v_cmp_gt_u32_e32 vcc, s7, v0
	s_and_saveexec_b64 s[0:1], vcc
	s_cbranch_execz .LBB54_2
; %bb.1:
	v_lshlrev_b32_e32 v2, 2, v0
	s_waitcnt vmcnt(0)
	ds_write_b32 v2, v1
.LBB54_2:
	s_or_b64 exec, exec, s[0:1]
	v_mul_u32_u24_e32 v2, 6, v0
	v_cmp_gt_u32_e32 vcc, s7, v2
	s_waitcnt vmcnt(0) lgkmcnt(0)
	s_barrier
	s_and_saveexec_b64 s[0:1], vcc
	s_cbranch_execz .LBB54_14
; %bb.3:
	v_lshlrev_b32_e32 v3, 2, v2
	ds_read_b32 v1, v3
	v_or_b32_e32 v4, 1, v2
	v_cmp_gt_u32_e32 vcc, s7, v4
	s_and_saveexec_b64 s[4:5], vcc
	s_cbranch_execz .LBB54_5
; %bb.4:
	ds_read_b32 v4, v3 offset:4
	s_waitcnt lgkmcnt(0)
	v_add_u32_e32 v1, v4, v1
.LBB54_5:
	s_or_b64 exec, exec, s[4:5]
	v_add_u32_e32 v4, 2, v2
	v_cmp_gt_u32_e32 vcc, s7, v4
	s_and_saveexec_b64 s[4:5], vcc
	s_cbranch_execz .LBB54_7
; %bb.6:
	ds_read_b32 v4, v3 offset:8
	s_waitcnt lgkmcnt(0)
	v_add_u32_e32 v1, v4, v1
.LBB54_7:
	s_or_b64 exec, exec, s[4:5]
	v_add_u32_e32 v4, 3, v2
	;; [unrolled: 10-line block ×4, first 2 shown]
	v_cmp_gt_u32_e32 vcc, s7, v2
	s_and_saveexec_b64 s[4:5], vcc
	s_cbranch_execz .LBB54_13
; %bb.12:
	ds_read_b32 v2, v3 offset:20
	s_waitcnt lgkmcnt(0)
	v_add_u32_e32 v1, v2, v1
.LBB54_13:
	s_or_b64 exec, exec, s[4:5]
	v_mbcnt_lo_u32_b32 v2, -1, 0
	v_mbcnt_hi_u32_b32 v2, -1, v2
	v_and_b32_e32 v3, 63, v2
	v_cmp_ne_u32_e32 vcc, 63, v3
	v_addc_co_u32_e32 v4, vcc, 0, v2, vcc
	v_lshlrev_b32_e32 v4, 2, v4
	s_waitcnt lgkmcnt(0)
	ds_bpermute_b32 v4, v4, v1
	s_add_i32 s7, s7, 5
	s_mul_hi_u32 s4, s7, 0xaaaaaaab
	s_lshr_b32 s4, s4, 2
	v_add_u32_e32 v5, 1, v2
	v_cmp_gt_u32_e32 vcc, s4, v5
	s_waitcnt lgkmcnt(0)
	v_cndmask_b32_e32 v4, 0, v4, vcc
	v_cmp_gt_u32_e32 vcc, 62, v3
	v_add_u32_e32 v1, v4, v1
	v_cndmask_b32_e64 v4, 0, 2, vcc
	v_add_lshl_u32 v4, v4, v2, 2
	ds_bpermute_b32 v4, v4, v1
	v_add_u32_e32 v5, 2, v2
	v_cmp_gt_u32_e32 vcc, s4, v5
	v_add_u32_e32 v5, 4, v2
	s_waitcnt lgkmcnt(0)
	v_cndmask_b32_e32 v4, 0, v4, vcc
	v_cmp_gt_u32_e32 vcc, 60, v3
	v_add_u32_e32 v1, v1, v4
	v_cndmask_b32_e64 v4, 0, 4, vcc
	v_add_lshl_u32 v4, v4, v2, 2
	ds_bpermute_b32 v4, v4, v1
	v_cmp_gt_u32_e32 vcc, s4, v5
	v_add_u32_e32 v5, 8, v2
	s_waitcnt lgkmcnt(0)
	v_cndmask_b32_e32 v4, 0, v4, vcc
	v_cmp_gt_u32_e32 vcc, 56, v3
	v_add_u32_e32 v1, v1, v4
	v_cndmask_b32_e64 v4, 0, 8, vcc
	v_add_lshl_u32 v4, v4, v2, 2
	ds_bpermute_b32 v4, v4, v1
	v_cmp_gt_u32_e32 vcc, s4, v5
	s_waitcnt lgkmcnt(0)
	v_cndmask_b32_e32 v4, 0, v4, vcc
	v_cmp_gt_u32_e32 vcc, 48, v3
	v_cndmask_b32_e64 v3, 0, 16, vcc
	v_add_u32_e32 v1, v1, v4
	v_add_lshl_u32 v3, v3, v2, 2
	ds_bpermute_b32 v3, v3, v1
	v_add_u32_e32 v4, 16, v2
	v_cmp_gt_u32_e32 vcc, s4, v4
	s_waitcnt lgkmcnt(0)
	v_cndmask_b32_e32 v3, 0, v3, vcc
	v_add_u32_e32 v1, v1, v3
	v_mov_b32_e32 v3, 0x80
	v_lshl_or_b32 v3, v2, 2, v3
	ds_bpermute_b32 v3, v3, v1
	v_add_u32_e32 v2, 32, v2
	v_cmp_gt_u32_e32 vcc, s4, v2
	s_waitcnt lgkmcnt(0)
	v_cndmask_b32_e32 v2, 0, v3, vcc
	v_add_u32_e32 v1, v1, v2
.LBB54_14:
	s_or_b64 exec, exec, s[0:1]
	s_mov_b32 s7, 0
	v_cmp_eq_u32_e32 vcc, 0, v0
	s_and_saveexec_b64 s[0:1], vcc
	s_cbranch_execz .LBB54_16
; %bb.15:
	s_lshl_b64 s[0:1], s[6:7], 2
	s_add_u32 s0, s2, s0
	s_addc_u32 s1, s3, s1
	v_mov_b32_e32 v0, 0
	global_store_dword v0, v1, s[0:1]
.LBB54_16:
	s_endpgm
	.section	.rodata,"a",@progbits
	.p2align	6, 0x0
	.amdhsa_kernel _Z19reduce_valid_kernelILj377ELN6hipcub20BlockReduceAlgorithmE1EiEvPT1_S3_j
		.amdhsa_group_segment_fixed_size 1508
		.amdhsa_private_segment_fixed_size 0
		.amdhsa_kernarg_size 20
		.amdhsa_user_sgpr_count 6
		.amdhsa_user_sgpr_private_segment_buffer 1
		.amdhsa_user_sgpr_dispatch_ptr 0
		.amdhsa_user_sgpr_queue_ptr 0
		.amdhsa_user_sgpr_kernarg_segment_ptr 1
		.amdhsa_user_sgpr_dispatch_id 0
		.amdhsa_user_sgpr_flat_scratch_init 0
		.amdhsa_user_sgpr_private_segment_size 0
		.amdhsa_uses_dynamic_stack 0
		.amdhsa_system_sgpr_private_segment_wavefront_offset 0
		.amdhsa_system_sgpr_workgroup_id_x 1
		.amdhsa_system_sgpr_workgroup_id_y 0
		.amdhsa_system_sgpr_workgroup_id_z 0
		.amdhsa_system_sgpr_workgroup_info 0
		.amdhsa_system_vgpr_workitem_id 0
		.amdhsa_next_free_vgpr 6
		.amdhsa_next_free_sgpr 8
		.amdhsa_reserve_vcc 1
		.amdhsa_reserve_flat_scratch 0
		.amdhsa_float_round_mode_32 0
		.amdhsa_float_round_mode_16_64 0
		.amdhsa_float_denorm_mode_32 3
		.amdhsa_float_denorm_mode_16_64 3
		.amdhsa_dx10_clamp 1
		.amdhsa_ieee_mode 1
		.amdhsa_fp16_overflow 0
		.amdhsa_exception_fp_ieee_invalid_op 0
		.amdhsa_exception_fp_denorm_src 0
		.amdhsa_exception_fp_ieee_div_zero 0
		.amdhsa_exception_fp_ieee_overflow 0
		.amdhsa_exception_fp_ieee_underflow 0
		.amdhsa_exception_fp_ieee_inexact 0
		.amdhsa_exception_int_div_zero 0
	.end_amdhsa_kernel
	.section	.text._Z19reduce_valid_kernelILj377ELN6hipcub20BlockReduceAlgorithmE1EiEvPT1_S3_j,"axG",@progbits,_Z19reduce_valid_kernelILj377ELN6hipcub20BlockReduceAlgorithmE1EiEvPT1_S3_j,comdat
.Lfunc_end54:
	.size	_Z19reduce_valid_kernelILj377ELN6hipcub20BlockReduceAlgorithmE1EiEvPT1_S3_j, .Lfunc_end54-_Z19reduce_valid_kernelILj377ELN6hipcub20BlockReduceAlgorithmE1EiEvPT1_S3_j
                                        ; -- End function
	.set _Z19reduce_valid_kernelILj377ELN6hipcub20BlockReduceAlgorithmE1EiEvPT1_S3_j.num_vgpr, 6
	.set _Z19reduce_valid_kernelILj377ELN6hipcub20BlockReduceAlgorithmE1EiEvPT1_S3_j.num_agpr, 0
	.set _Z19reduce_valid_kernelILj377ELN6hipcub20BlockReduceAlgorithmE1EiEvPT1_S3_j.numbered_sgpr, 8
	.set _Z19reduce_valid_kernelILj377ELN6hipcub20BlockReduceAlgorithmE1EiEvPT1_S3_j.num_named_barrier, 0
	.set _Z19reduce_valid_kernelILj377ELN6hipcub20BlockReduceAlgorithmE1EiEvPT1_S3_j.private_seg_size, 0
	.set _Z19reduce_valid_kernelILj377ELN6hipcub20BlockReduceAlgorithmE1EiEvPT1_S3_j.uses_vcc, 1
	.set _Z19reduce_valid_kernelILj377ELN6hipcub20BlockReduceAlgorithmE1EiEvPT1_S3_j.uses_flat_scratch, 0
	.set _Z19reduce_valid_kernelILj377ELN6hipcub20BlockReduceAlgorithmE1EiEvPT1_S3_j.has_dyn_sized_stack, 0
	.set _Z19reduce_valid_kernelILj377ELN6hipcub20BlockReduceAlgorithmE1EiEvPT1_S3_j.has_recursion, 0
	.set _Z19reduce_valid_kernelILj377ELN6hipcub20BlockReduceAlgorithmE1EiEvPT1_S3_j.has_indirect_call, 0
	.section	.AMDGPU.csdata,"",@progbits
; Kernel info:
; codeLenInByte = 676
; TotalNumSgprs: 12
; NumVgprs: 6
; ScratchSize: 0
; MemoryBound: 0
; FloatMode: 240
; IeeeMode: 1
; LDSByteSize: 1508 bytes/workgroup (compile time only)
; SGPRBlocks: 1
; VGPRBlocks: 1
; NumSGPRsForWavesPerEU: 12
; NumVGPRsForWavesPerEU: 6
; Occupancy: 10
; WaveLimiterHint : 0
; COMPUTE_PGM_RSRC2:SCRATCH_EN: 0
; COMPUTE_PGM_RSRC2:USER_SGPR: 6
; COMPUTE_PGM_RSRC2:TRAP_HANDLER: 0
; COMPUTE_PGM_RSRC2:TGID_X_EN: 1
; COMPUTE_PGM_RSRC2:TGID_Y_EN: 0
; COMPUTE_PGM_RSRC2:TGID_Z_EN: 0
; COMPUTE_PGM_RSRC2:TIDIG_COMP_CNT: 0
	.section	.text._Z19reduce_valid_kernelILj255ELN6hipcub20BlockReduceAlgorithmE1EjEvPT1_S3_j,"axG",@progbits,_Z19reduce_valid_kernelILj255ELN6hipcub20BlockReduceAlgorithmE1EjEvPT1_S3_j,comdat
	.protected	_Z19reduce_valid_kernelILj255ELN6hipcub20BlockReduceAlgorithmE1EjEvPT1_S3_j ; -- Begin function _Z19reduce_valid_kernelILj255ELN6hipcub20BlockReduceAlgorithmE1EjEvPT1_S3_j
	.globl	_Z19reduce_valid_kernelILj255ELN6hipcub20BlockReduceAlgorithmE1EjEvPT1_S3_j
	.p2align	8
	.type	_Z19reduce_valid_kernelILj255ELN6hipcub20BlockReduceAlgorithmE1EjEvPT1_S3_j,@function
_Z19reduce_valid_kernelILj255ELN6hipcub20BlockReduceAlgorithmE1EjEvPT1_S3_j: ; @_Z19reduce_valid_kernelILj255ELN6hipcub20BlockReduceAlgorithmE1EjEvPT1_S3_j
; %bb.0:
	s_load_dwordx4 s[0:3], s[4:5], 0x0
	s_load_dword s7, s[4:5], 0x10
	s_mul_i32 s4, s6, 0xff
	v_add_u32_e32 v1, s4, v0
	v_mov_b32_e32 v2, 0
	v_lshlrev_b64 v[1:2], 2, v[1:2]
	s_waitcnt lgkmcnt(0)
	v_mov_b32_e32 v3, s1
	v_add_co_u32_e32 v1, vcc, s0, v1
	v_addc_co_u32_e32 v2, vcc, v3, v2, vcc
	global_load_dword v1, v[1:2], off
	v_cmp_gt_u32_e32 vcc, s7, v0
	v_lshlrev_b32_e32 v2, 2, v0
	s_and_saveexec_b64 s[0:1], vcc
	s_cbranch_execz .LBB55_2
; %bb.1:
	s_waitcnt vmcnt(0)
	ds_write_b32 v2, v1
.LBB55_2:
	s_or_b64 exec, exec, s[0:1]
	v_cmp_gt_u32_e32 vcc, s7, v2
	s_waitcnt vmcnt(0) lgkmcnt(0)
	s_barrier
	s_and_saveexec_b64 s[0:1], vcc
	s_cbranch_execz .LBB55_10
; %bb.3:
	v_lshlrev_b32_e32 v3, 2, v2
	ds_read_b32 v1, v3
	v_or_b32_e32 v4, 1, v2
	v_cmp_gt_u32_e32 vcc, s7, v4
	s_and_saveexec_b64 s[4:5], vcc
	s_cbranch_execz .LBB55_5
; %bb.4:
	ds_read_b32 v4, v3 offset:4
	s_waitcnt lgkmcnt(0)
	v_add_u32_e32 v1, v4, v1
.LBB55_5:
	s_or_b64 exec, exec, s[4:5]
	v_or_b32_e32 v4, 2, v2
	v_cmp_gt_u32_e32 vcc, s7, v4
	s_and_saveexec_b64 s[4:5], vcc
	s_cbranch_execz .LBB55_7
; %bb.6:
	ds_read_b32 v4, v3 offset:8
	s_waitcnt lgkmcnt(0)
	v_add_u32_e32 v1, v4, v1
.LBB55_7:
	s_or_b64 exec, exec, s[4:5]
	;; [unrolled: 10-line block ×3, first 2 shown]
	v_mbcnt_lo_u32_b32 v2, -1, 0
	v_mbcnt_hi_u32_b32 v2, -1, v2
	v_and_b32_e32 v3, 63, v2
	v_cmp_ne_u32_e32 vcc, 63, v3
	v_addc_co_u32_e32 v4, vcc, 0, v2, vcc
	v_lshlrev_b32_e32 v4, 2, v4
	s_waitcnt lgkmcnt(0)
	ds_bpermute_b32 v4, v4, v1
	s_add_i32 s7, s7, 3
	s_lshr_b32 s4, s7, 2
	v_add_u32_e32 v5, 1, v2
	v_cmp_gt_u32_e32 vcc, s4, v5
	s_waitcnt lgkmcnt(0)
	v_cndmask_b32_e32 v4, 0, v4, vcc
	v_cmp_gt_u32_e32 vcc, 62, v3
	v_add_u32_e32 v1, v4, v1
	v_cndmask_b32_e64 v4, 0, 2, vcc
	v_add_lshl_u32 v4, v4, v2, 2
	ds_bpermute_b32 v4, v4, v1
	v_add_u32_e32 v5, 2, v2
	v_cmp_gt_u32_e32 vcc, s4, v5
	v_add_u32_e32 v5, 4, v2
	s_waitcnt lgkmcnt(0)
	v_cndmask_b32_e32 v4, 0, v4, vcc
	v_cmp_gt_u32_e32 vcc, 60, v3
	v_add_u32_e32 v1, v1, v4
	v_cndmask_b32_e64 v4, 0, 4, vcc
	v_add_lshl_u32 v4, v4, v2, 2
	ds_bpermute_b32 v4, v4, v1
	v_cmp_gt_u32_e32 vcc, s4, v5
	v_add_u32_e32 v5, 8, v2
	s_waitcnt lgkmcnt(0)
	v_cndmask_b32_e32 v4, 0, v4, vcc
	v_cmp_gt_u32_e32 vcc, 56, v3
	v_add_u32_e32 v1, v1, v4
	v_cndmask_b32_e64 v4, 0, 8, vcc
	v_add_lshl_u32 v4, v4, v2, 2
	ds_bpermute_b32 v4, v4, v1
	v_cmp_gt_u32_e32 vcc, s4, v5
	s_waitcnt lgkmcnt(0)
	v_cndmask_b32_e32 v4, 0, v4, vcc
	v_cmp_gt_u32_e32 vcc, 48, v3
	v_cndmask_b32_e64 v3, 0, 16, vcc
	v_add_u32_e32 v1, v1, v4
	v_add_lshl_u32 v3, v3, v2, 2
	ds_bpermute_b32 v3, v3, v1
	v_add_u32_e32 v4, 16, v2
	v_cmp_gt_u32_e32 vcc, s4, v4
	s_waitcnt lgkmcnt(0)
	v_cndmask_b32_e32 v3, 0, v3, vcc
	v_add_u32_e32 v1, v1, v3
	v_mov_b32_e32 v3, 0x80
	v_lshl_or_b32 v3, v2, 2, v3
	ds_bpermute_b32 v3, v3, v1
	v_add_u32_e32 v2, 32, v2
	v_cmp_gt_u32_e32 vcc, s4, v2
	s_waitcnt lgkmcnt(0)
	v_cndmask_b32_e32 v2, 0, v3, vcc
	v_add_u32_e32 v1, v1, v2
.LBB55_10:
	s_or_b64 exec, exec, s[0:1]
	s_mov_b32 s7, 0
	v_cmp_eq_u32_e32 vcc, 0, v0
	s_and_saveexec_b64 s[0:1], vcc
	s_cbranch_execz .LBB55_12
; %bb.11:
	s_lshl_b64 s[0:1], s[6:7], 2
	s_add_u32 s0, s2, s0
	s_addc_u32 s1, s3, s1
	v_mov_b32_e32 v0, 0
	global_store_dword v0, v1, s[0:1]
.LBB55_12:
	s_endpgm
	.section	.rodata,"a",@progbits
	.p2align	6, 0x0
	.amdhsa_kernel _Z19reduce_valid_kernelILj255ELN6hipcub20BlockReduceAlgorithmE1EjEvPT1_S3_j
		.amdhsa_group_segment_fixed_size 1020
		.amdhsa_private_segment_fixed_size 0
		.amdhsa_kernarg_size 20
		.amdhsa_user_sgpr_count 6
		.amdhsa_user_sgpr_private_segment_buffer 1
		.amdhsa_user_sgpr_dispatch_ptr 0
		.amdhsa_user_sgpr_queue_ptr 0
		.amdhsa_user_sgpr_kernarg_segment_ptr 1
		.amdhsa_user_sgpr_dispatch_id 0
		.amdhsa_user_sgpr_flat_scratch_init 0
		.amdhsa_user_sgpr_private_segment_size 0
		.amdhsa_uses_dynamic_stack 0
		.amdhsa_system_sgpr_private_segment_wavefront_offset 0
		.amdhsa_system_sgpr_workgroup_id_x 1
		.amdhsa_system_sgpr_workgroup_id_y 0
		.amdhsa_system_sgpr_workgroup_id_z 0
		.amdhsa_system_sgpr_workgroup_info 0
		.amdhsa_system_vgpr_workitem_id 0
		.amdhsa_next_free_vgpr 6
		.amdhsa_next_free_sgpr 8
		.amdhsa_reserve_vcc 1
		.amdhsa_reserve_flat_scratch 0
		.amdhsa_float_round_mode_32 0
		.amdhsa_float_round_mode_16_64 0
		.amdhsa_float_denorm_mode_32 3
		.amdhsa_float_denorm_mode_16_64 3
		.amdhsa_dx10_clamp 1
		.amdhsa_ieee_mode 1
		.amdhsa_fp16_overflow 0
		.amdhsa_exception_fp_ieee_invalid_op 0
		.amdhsa_exception_fp_denorm_src 0
		.amdhsa_exception_fp_ieee_div_zero 0
		.amdhsa_exception_fp_ieee_overflow 0
		.amdhsa_exception_fp_ieee_underflow 0
		.amdhsa_exception_fp_ieee_inexact 0
		.amdhsa_exception_int_div_zero 0
	.end_amdhsa_kernel
	.section	.text._Z19reduce_valid_kernelILj255ELN6hipcub20BlockReduceAlgorithmE1EjEvPT1_S3_j,"axG",@progbits,_Z19reduce_valid_kernelILj255ELN6hipcub20BlockReduceAlgorithmE1EjEvPT1_S3_j,comdat
.Lfunc_end55:
	.size	_Z19reduce_valid_kernelILj255ELN6hipcub20BlockReduceAlgorithmE1EjEvPT1_S3_j, .Lfunc_end55-_Z19reduce_valid_kernelILj255ELN6hipcub20BlockReduceAlgorithmE1EjEvPT1_S3_j
                                        ; -- End function
	.set _Z19reduce_valid_kernelILj255ELN6hipcub20BlockReduceAlgorithmE1EjEvPT1_S3_j.num_vgpr, 6
	.set _Z19reduce_valid_kernelILj255ELN6hipcub20BlockReduceAlgorithmE1EjEvPT1_S3_j.num_agpr, 0
	.set _Z19reduce_valid_kernelILj255ELN6hipcub20BlockReduceAlgorithmE1EjEvPT1_S3_j.numbered_sgpr, 8
	.set _Z19reduce_valid_kernelILj255ELN6hipcub20BlockReduceAlgorithmE1EjEvPT1_S3_j.num_named_barrier, 0
	.set _Z19reduce_valid_kernelILj255ELN6hipcub20BlockReduceAlgorithmE1EjEvPT1_S3_j.private_seg_size, 0
	.set _Z19reduce_valid_kernelILj255ELN6hipcub20BlockReduceAlgorithmE1EjEvPT1_S3_j.uses_vcc, 1
	.set _Z19reduce_valid_kernelILj255ELN6hipcub20BlockReduceAlgorithmE1EjEvPT1_S3_j.uses_flat_scratch, 0
	.set _Z19reduce_valid_kernelILj255ELN6hipcub20BlockReduceAlgorithmE1EjEvPT1_S3_j.has_dyn_sized_stack, 0
	.set _Z19reduce_valid_kernelILj255ELN6hipcub20BlockReduceAlgorithmE1EjEvPT1_S3_j.has_recursion, 0
	.set _Z19reduce_valid_kernelILj255ELN6hipcub20BlockReduceAlgorithmE1EjEvPT1_S3_j.has_indirect_call, 0
	.section	.AMDGPU.csdata,"",@progbits
; Kernel info:
; codeLenInByte = 592
; TotalNumSgprs: 12
; NumVgprs: 6
; ScratchSize: 0
; MemoryBound: 0
; FloatMode: 240
; IeeeMode: 1
; LDSByteSize: 1020 bytes/workgroup (compile time only)
; SGPRBlocks: 1
; VGPRBlocks: 1
; NumSGPRsForWavesPerEU: 12
; NumVGPRsForWavesPerEU: 6
; Occupancy: 10
; WaveLimiterHint : 0
; COMPUTE_PGM_RSRC2:SCRATCH_EN: 0
; COMPUTE_PGM_RSRC2:USER_SGPR: 6
; COMPUTE_PGM_RSRC2:TRAP_HANDLER: 0
; COMPUTE_PGM_RSRC2:TGID_X_EN: 1
; COMPUTE_PGM_RSRC2:TGID_Y_EN: 0
; COMPUTE_PGM_RSRC2:TGID_Z_EN: 0
; COMPUTE_PGM_RSRC2:TIDIG_COMP_CNT: 0
	.section	.text._Z19reduce_valid_kernelILj162ELN6hipcub20BlockReduceAlgorithmE1EsEvPT1_S3_j,"axG",@progbits,_Z19reduce_valid_kernelILj162ELN6hipcub20BlockReduceAlgorithmE1EsEvPT1_S3_j,comdat
	.protected	_Z19reduce_valid_kernelILj162ELN6hipcub20BlockReduceAlgorithmE1EsEvPT1_S3_j ; -- Begin function _Z19reduce_valid_kernelILj162ELN6hipcub20BlockReduceAlgorithmE1EsEvPT1_S3_j
	.globl	_Z19reduce_valid_kernelILj162ELN6hipcub20BlockReduceAlgorithmE1EsEvPT1_S3_j
	.p2align	8
	.type	_Z19reduce_valid_kernelILj162ELN6hipcub20BlockReduceAlgorithmE1EsEvPT1_S3_j,@function
_Z19reduce_valid_kernelILj162ELN6hipcub20BlockReduceAlgorithmE1EsEvPT1_S3_j: ; @_Z19reduce_valid_kernelILj162ELN6hipcub20BlockReduceAlgorithmE1EsEvPT1_S3_j
; %bb.0:
	s_load_dwordx4 s[8:11], s[4:5], 0x0
	s_load_dword s2, s[4:5], 0x10
	s_mul_i32 s0, s6, 0xa2
	v_add_u32_e32 v1, s0, v0
	v_mov_b32_e32 v2, 0
	v_lshlrev_b64 v[1:2], 1, v[1:2]
	s_waitcnt lgkmcnt(0)
	v_mov_b32_e32 v3, s9
	v_add_co_u32_e32 v1, vcc, s8, v1
	v_addc_co_u32_e32 v2, vcc, v3, v2, vcc
	global_load_ushort v1, v[1:2], off
	v_cmp_gt_u32_e32 vcc, s2, v0
	s_and_saveexec_b64 s[0:1], vcc
	s_cbranch_execz .LBB56_2
; %bb.1:
	v_lshlrev_b32_e32 v2, 1, v0
	s_waitcnt vmcnt(0)
	ds_write_b16 v2, v1
.LBB56_2:
	s_or_b64 exec, exec, s[0:1]
	v_mul_u32_u24_e32 v2, 3, v0
	v_cmp_gt_u32_e32 vcc, s2, v2
	s_waitcnt vmcnt(0) lgkmcnt(0)
	s_barrier
	s_and_saveexec_b64 s[8:9], vcc
	s_cbranch_execz .LBB56_8
; %bb.3:
	v_lshlrev_b32_e32 v3, 1, v2
	ds_read_u16 v1, v3
	v_add_u32_e32 v4, 1, v2
	v_cmp_gt_u32_e32 vcc, s2, v4
	s_and_saveexec_b64 s[0:1], vcc
	s_cbranch_execz .LBB56_5
; %bb.4:
	ds_read_u16 v4, v3 offset:2
	s_waitcnt lgkmcnt(0)
	v_add_u16_e32 v1, v4, v1
.LBB56_5:
	s_or_b64 exec, exec, s[0:1]
	v_add_u32_e32 v2, 2, v2
	v_cmp_gt_u32_e32 vcc, s2, v2
	s_and_saveexec_b64 s[0:1], vcc
	s_cbranch_execz .LBB56_7
; %bb.6:
	ds_read_u16 v2, v3 offset:4
	s_waitcnt lgkmcnt(0)
	v_add_u16_e32 v1, v2, v1
.LBB56_7:
	s_or_b64 exec, exec, s[0:1]
	v_mbcnt_lo_u32_b32 v2, -1, 0
	v_mbcnt_hi_u32_b32 v2, -1, v2
	v_and_b32_e32 v3, 63, v2
	v_cmp_ne_u32_e32 vcc, 63, v3
	v_addc_co_u32_e32 v4, vcc, 0, v2, vcc
	v_lshlrev_b32_e32 v4, 2, v4
	s_waitcnt lgkmcnt(0)
	v_and_b32_e32 v5, 0xffff, v1
	ds_bpermute_b32 v4, v4, v5
	s_add_i32 s2, s2, 2
	s_mul_hi_u32 s0, s2, 0xaaaaaaab
	s_lshr_b32 s7, s0, 1
	v_add_u32_e32 v6, 1, v2
	v_cmp_gt_u32_e64 s[0:1], 62, v3
	s_waitcnt lgkmcnt(0)
	v_add_u16_e32 v4, v1, v4
	v_cmp_gt_u32_e32 vcc, s7, v6
	v_cndmask_b32_e64 v6, 0, 2, s[0:1]
	v_cndmask_b32_e32 v5, v5, v4, vcc
	v_add_lshl_u32 v6, v6, v2, 2
	ds_bpermute_b32 v6, v6, v5
	v_cndmask_b32_e32 v4, v1, v4, vcc
	v_add_u32_e32 v7, 2, v2
	v_cmp_gt_u32_e64 s[2:3], 60, v3
	v_cmp_gt_u32_e64 s[0:1], s7, v7
	s_waitcnt lgkmcnt(0)
	v_add_u16_e32 v6, v4, v6
	v_cndmask_b32_e64 v7, 0, 4, s[2:3]
	v_cndmask_b32_e64 v5, v5, v6, s[0:1]
	v_add_lshl_u32 v7, v7, v2, 2
	ds_bpermute_b32 v7, v7, v5
	v_cndmask_b32_e64 v4, v4, v6, s[0:1]
	v_add_u32_e32 v6, 4, v2
	v_cmp_gt_u32_e64 s[4:5], 56, v3
	v_cmp_gt_u32_e64 s[2:3], s7, v6
	s_waitcnt lgkmcnt(0)
	v_add_u16_e32 v7, v4, v7
	v_cndmask_b32_e64 v6, 0, 8, s[4:5]
	v_cndmask_b32_e64 v5, v5, v7, s[2:3]
	v_add_lshl_u32 v6, v6, v2, 2
	ds_bpermute_b32 v6, v6, v5
	s_or_b64 s[4:5], vcc, s[0:1]
	v_cndmask_b32_e64 v4, v4, v7, s[2:3]
	v_add_u32_e32 v7, 8, v2
	v_cmp_gt_u32_e64 s[0:1], 48, v3
	s_waitcnt lgkmcnt(0)
	v_add_u16_e32 v6, v4, v6
	v_cmp_gt_u32_e32 vcc, s7, v7
	v_cndmask_b32_e64 v3, 0, 16, s[0:1]
	v_cndmask_b32_e32 v5, v5, v6, vcc
	v_add_lshl_u32 v3, v3, v2, 2
	ds_bpermute_b32 v3, v3, v5
	s_or_b64 s[0:1], s[2:3], s[4:5]
	v_cndmask_b32_e32 v4, v4, v6, vcc
	v_add_u32_e32 v6, 16, v2
	s_or_b64 s[0:1], vcc, s[0:1]
	s_waitcnt lgkmcnt(0)
	v_add_u16_e32 v3, v4, v3
	v_cmp_gt_u32_e32 vcc, s7, v6
	v_mov_b32_e32 v6, 0x80
	v_cndmask_b32_e32 v5, v5, v3, vcc
	v_lshl_or_b32 v6, v2, 2, v6
	ds_bpermute_b32 v5, v6, v5
	v_add_u32_e32 v2, 32, v2
	s_or_b64 s[0:1], vcc, s[0:1]
	v_cndmask_b32_e32 v3, v4, v3, vcc
	v_cmp_gt_u32_e32 vcc, s7, v2
	s_waitcnt lgkmcnt(0)
	v_cndmask_b32_e32 v2, 0, v5, vcc
	v_add_u16_e32 v2, v3, v2
	s_or_b64 vcc, vcc, s[0:1]
	v_cndmask_b32_e32 v1, v1, v2, vcc
.LBB56_8:
	s_or_b64 exec, exec, s[8:9]
	s_mov_b32 s7, 0
	v_cmp_eq_u32_e32 vcc, 0, v0
	s_and_saveexec_b64 s[0:1], vcc
	s_cbranch_execz .LBB56_10
; %bb.9:
	s_lshl_b64 s[0:1], s[6:7], 1
	s_add_u32 s0, s10, s0
	s_addc_u32 s1, s11, s1
	v_mov_b32_e32 v0, 0
	global_store_short v0, v1, s[0:1]
.LBB56_10:
	s_endpgm
	.section	.rodata,"a",@progbits
	.p2align	6, 0x0
	.amdhsa_kernel _Z19reduce_valid_kernelILj162ELN6hipcub20BlockReduceAlgorithmE1EsEvPT1_S3_j
		.amdhsa_group_segment_fixed_size 324
		.amdhsa_private_segment_fixed_size 0
		.amdhsa_kernarg_size 20
		.amdhsa_user_sgpr_count 6
		.amdhsa_user_sgpr_private_segment_buffer 1
		.amdhsa_user_sgpr_dispatch_ptr 0
		.amdhsa_user_sgpr_queue_ptr 0
		.amdhsa_user_sgpr_kernarg_segment_ptr 1
		.amdhsa_user_sgpr_dispatch_id 0
		.amdhsa_user_sgpr_flat_scratch_init 0
		.amdhsa_user_sgpr_private_segment_size 0
		.amdhsa_uses_dynamic_stack 0
		.amdhsa_system_sgpr_private_segment_wavefront_offset 0
		.amdhsa_system_sgpr_workgroup_id_x 1
		.amdhsa_system_sgpr_workgroup_id_y 0
		.amdhsa_system_sgpr_workgroup_id_z 0
		.amdhsa_system_sgpr_workgroup_info 0
		.amdhsa_system_vgpr_workitem_id 0
		.amdhsa_next_free_vgpr 8
		.amdhsa_next_free_sgpr 12
		.amdhsa_reserve_vcc 1
		.amdhsa_reserve_flat_scratch 0
		.amdhsa_float_round_mode_32 0
		.amdhsa_float_round_mode_16_64 0
		.amdhsa_float_denorm_mode_32 3
		.amdhsa_float_denorm_mode_16_64 3
		.amdhsa_dx10_clamp 1
		.amdhsa_ieee_mode 1
		.amdhsa_fp16_overflow 0
		.amdhsa_exception_fp_ieee_invalid_op 0
		.amdhsa_exception_fp_denorm_src 0
		.amdhsa_exception_fp_ieee_div_zero 0
		.amdhsa_exception_fp_ieee_overflow 0
		.amdhsa_exception_fp_ieee_underflow 0
		.amdhsa_exception_fp_ieee_inexact 0
		.amdhsa_exception_int_div_zero 0
	.end_amdhsa_kernel
	.section	.text._Z19reduce_valid_kernelILj162ELN6hipcub20BlockReduceAlgorithmE1EsEvPT1_S3_j,"axG",@progbits,_Z19reduce_valid_kernelILj162ELN6hipcub20BlockReduceAlgorithmE1EsEvPT1_S3_j,comdat
.Lfunc_end56:
	.size	_Z19reduce_valid_kernelILj162ELN6hipcub20BlockReduceAlgorithmE1EsEvPT1_S3_j, .Lfunc_end56-_Z19reduce_valid_kernelILj162ELN6hipcub20BlockReduceAlgorithmE1EsEvPT1_S3_j
                                        ; -- End function
	.set _Z19reduce_valid_kernelILj162ELN6hipcub20BlockReduceAlgorithmE1EsEvPT1_S3_j.num_vgpr, 8
	.set _Z19reduce_valid_kernelILj162ELN6hipcub20BlockReduceAlgorithmE1EsEvPT1_S3_j.num_agpr, 0
	.set _Z19reduce_valid_kernelILj162ELN6hipcub20BlockReduceAlgorithmE1EsEvPT1_S3_j.numbered_sgpr, 12
	.set _Z19reduce_valid_kernelILj162ELN6hipcub20BlockReduceAlgorithmE1EsEvPT1_S3_j.num_named_barrier, 0
	.set _Z19reduce_valid_kernelILj162ELN6hipcub20BlockReduceAlgorithmE1EsEvPT1_S3_j.private_seg_size, 0
	.set _Z19reduce_valid_kernelILj162ELN6hipcub20BlockReduceAlgorithmE1EsEvPT1_S3_j.uses_vcc, 1
	.set _Z19reduce_valid_kernelILj162ELN6hipcub20BlockReduceAlgorithmE1EsEvPT1_S3_j.uses_flat_scratch, 0
	.set _Z19reduce_valid_kernelILj162ELN6hipcub20BlockReduceAlgorithmE1EsEvPT1_S3_j.has_dyn_sized_stack, 0
	.set _Z19reduce_valid_kernelILj162ELN6hipcub20BlockReduceAlgorithmE1EsEvPT1_S3_j.has_recursion, 0
	.set _Z19reduce_valid_kernelILj162ELN6hipcub20BlockReduceAlgorithmE1EsEvPT1_S3_j.has_indirect_call, 0
	.section	.AMDGPU.csdata,"",@progbits
; Kernel info:
; codeLenInByte = 660
; TotalNumSgprs: 16
; NumVgprs: 8
; ScratchSize: 0
; MemoryBound: 0
; FloatMode: 240
; IeeeMode: 1
; LDSByteSize: 324 bytes/workgroup (compile time only)
; SGPRBlocks: 1
; VGPRBlocks: 1
; NumSGPRsForWavesPerEU: 16
; NumVGPRsForWavesPerEU: 8
; Occupancy: 10
; WaveLimiterHint : 0
; COMPUTE_PGM_RSRC2:SCRATCH_EN: 0
; COMPUTE_PGM_RSRC2:USER_SGPR: 6
; COMPUTE_PGM_RSRC2:TRAP_HANDLER: 0
; COMPUTE_PGM_RSRC2:TGID_X_EN: 1
; COMPUTE_PGM_RSRC2:TGID_Y_EN: 0
; COMPUTE_PGM_RSRC2:TGID_Z_EN: 0
; COMPUTE_PGM_RSRC2:TIDIG_COMP_CNT: 0
	.section	.text._Z19reduce_valid_kernelILj37ELN6hipcub20BlockReduceAlgorithmE1ElEvPT1_S3_j,"axG",@progbits,_Z19reduce_valid_kernelILj37ELN6hipcub20BlockReduceAlgorithmE1ElEvPT1_S3_j,comdat
	.protected	_Z19reduce_valid_kernelILj37ELN6hipcub20BlockReduceAlgorithmE1ElEvPT1_S3_j ; -- Begin function _Z19reduce_valid_kernelILj37ELN6hipcub20BlockReduceAlgorithmE1ElEvPT1_S3_j
	.globl	_Z19reduce_valid_kernelILj37ELN6hipcub20BlockReduceAlgorithmE1ElEvPT1_S3_j
	.p2align	8
	.type	_Z19reduce_valid_kernelILj37ELN6hipcub20BlockReduceAlgorithmE1ElEvPT1_S3_j,@function
_Z19reduce_valid_kernelILj37ELN6hipcub20BlockReduceAlgorithmE1ElEvPT1_S3_j: ; @_Z19reduce_valid_kernelILj37ELN6hipcub20BlockReduceAlgorithmE1ElEvPT1_S3_j
; %bb.0:
	v_mad_u64_u32 v[1:2], s[0:1], s6, 37, v[0:1]
	s_load_dwordx4 s[0:3], s[4:5], 0x0
	s_load_dword s7, s[4:5], 0x10
	v_mov_b32_e32 v2, 0
	v_lshlrev_b64 v[1:2], 3, v[1:2]
	s_waitcnt lgkmcnt(0)
	v_mov_b32_e32 v3, s1
	v_add_co_u32_e32 v1, vcc, s0, v1
	v_addc_co_u32_e32 v2, vcc, v3, v2, vcc
	global_load_dwordx2 v[1:2], v[1:2], off
	v_cmp_gt_u32_e32 vcc, s7, v0
	v_lshlrev_b32_e32 v3, 2, v0
	s_and_saveexec_b64 s[0:1], vcc
	s_cbranch_execz .LBB57_2
; %bb.1:
	s_waitcnt vmcnt(0)
	ds_write2_b32 v3, v1, v2 offset1:37
.LBB57_2:
	s_or_b64 exec, exec, s[0:1]
	s_waitcnt lgkmcnt(0)
	; wave barrier
	s_and_saveexec_b64 s[0:1], vcc
	s_cbranch_execz .LBB57_14
; %bb.3:
	s_waitcnt vmcnt(0)
	ds_read2_b32 v[1:2], v3 offset1:37
	v_mbcnt_lo_u32_b32 v3, -1, 0
	v_mbcnt_hi_u32_b32 v3, -1, v3
	v_and_b32_e32 v5, 63, v3
	v_cmp_ne_u32_e32 vcc, 63, v5
	v_addc_co_u32_e32 v4, vcc, 0, v3, vcc
	v_lshlrev_b32_e32 v4, 2, v4
	s_waitcnt lgkmcnt(0)
	ds_bpermute_b32 v7, v4, v1
	ds_bpermute_b32 v6, v4, v2
	v_add_u32_e32 v4, 1, v3
	v_cmp_gt_u32_e32 vcc, s7, v4
	v_mov_b32_e32 v4, v1
	s_and_saveexec_b64 s[4:5], vcc
	s_cbranch_execz .LBB57_5
; %bb.4:
	s_waitcnt lgkmcnt(1)
	v_add_co_u32_e32 v4, vcc, v1, v7
	v_addc_co_u32_e32 v2, vcc, 0, v2, vcc
	v_add_co_u32_e32 v1, vcc, 0, v4
	s_waitcnt lgkmcnt(0)
	v_addc_co_u32_e32 v2, vcc, v6, v2, vcc
.LBB57_5:
	s_or_b64 exec, exec, s[4:5]
	v_cmp_gt_u32_e32 vcc, 62, v5
	s_waitcnt lgkmcnt(0)
	v_cndmask_b32_e64 v6, 0, 2, vcc
	v_add_lshl_u32 v6, v6, v3, 2
	ds_bpermute_b32 v7, v6, v4
	ds_bpermute_b32 v6, v6, v2
	v_add_u32_e32 v8, 2, v3
	v_cmp_gt_u32_e32 vcc, s7, v8
	s_and_saveexec_b64 s[4:5], vcc
	s_cbranch_execz .LBB57_7
; %bb.6:
	s_waitcnt lgkmcnt(1)
	v_add_co_u32_e32 v4, vcc, v1, v7
	v_addc_co_u32_e32 v2, vcc, 0, v2, vcc
	v_add_co_u32_e32 v1, vcc, 0, v4
	s_waitcnt lgkmcnt(0)
	v_addc_co_u32_e32 v2, vcc, v6, v2, vcc
.LBB57_7:
	s_or_b64 exec, exec, s[4:5]
	v_cmp_gt_u32_e32 vcc, 60, v5
	s_waitcnt lgkmcnt(0)
	v_cndmask_b32_e64 v6, 0, 4, vcc
	v_add_lshl_u32 v6, v6, v3, 2
	ds_bpermute_b32 v7, v6, v4
	ds_bpermute_b32 v6, v6, v2
	v_add_u32_e32 v8, 4, v3
	v_cmp_gt_u32_e32 vcc, s7, v8
	;; [unrolled: 19-line block ×3, first 2 shown]
	s_and_saveexec_b64 s[4:5], vcc
	s_cbranch_execz .LBB57_11
; %bb.10:
	s_waitcnt lgkmcnt(1)
	v_add_co_u32_e32 v4, vcc, v1, v7
	v_addc_co_u32_e32 v2, vcc, 0, v2, vcc
	v_add_co_u32_e32 v1, vcc, 0, v4
	s_waitcnt lgkmcnt(0)
	v_addc_co_u32_e32 v2, vcc, v6, v2, vcc
.LBB57_11:
	s_or_b64 exec, exec, s[4:5]
	v_cmp_gt_u32_e32 vcc, 48, v5
	v_cndmask_b32_e64 v5, 0, 16, vcc
	v_add_lshl_u32 v5, v5, v3, 2
	s_waitcnt lgkmcnt(0)
	ds_bpermute_b32 v6, v5, v4
	ds_bpermute_b32 v5, v5, v2
	v_add_u32_e32 v7, 16, v3
	v_cmp_gt_u32_e32 vcc, s7, v7
	s_and_saveexec_b64 s[4:5], vcc
	s_cbranch_execz .LBB57_13
; %bb.12:
	s_waitcnt lgkmcnt(1)
	v_add_co_u32_e32 v4, vcc, v1, v6
	v_addc_co_u32_e32 v2, vcc, 0, v2, vcc
	v_add_co_u32_e32 v1, vcc, 0, v4
	s_waitcnt lgkmcnt(0)
	v_addc_co_u32_e32 v2, vcc, v5, v2, vcc
.LBB57_13:
	s_or_b64 exec, exec, s[4:5]
	s_waitcnt lgkmcnt(0)
	v_mov_b32_e32 v5, 0x80
	v_lshl_or_b32 v5, v3, 2, v5
	ds_bpermute_b32 v4, v5, v4
	ds_bpermute_b32 v5, v5, v2
	v_add_u32_e32 v3, 32, v3
	s_waitcnt lgkmcnt(1)
	v_add_co_u32_e32 v4, vcc, v1, v4
	v_addc_co_u32_e32 v6, vcc, 0, v2, vcc
	v_add_co_u32_e32 v4, vcc, 0, v4
	s_waitcnt lgkmcnt(0)
	v_addc_co_u32_e32 v5, vcc, v6, v5, vcc
	v_cmp_gt_u32_e32 vcc, s7, v3
	v_cndmask_b32_e32 v2, v2, v5, vcc
	v_cndmask_b32_e32 v1, v1, v4, vcc
.LBB57_14:
	s_or_b64 exec, exec, s[0:1]
	s_mov_b32 s7, 0
	v_cmp_eq_u32_e32 vcc, 0, v0
	s_and_saveexec_b64 s[0:1], vcc
	s_cbranch_execz .LBB57_16
; %bb.15:
	s_lshl_b64 s[0:1], s[6:7], 3
	s_add_u32 s0, s2, s0
	s_addc_u32 s1, s3, s1
	v_mov_b32_e32 v0, 0
	s_waitcnt vmcnt(0)
	global_store_dwordx2 v0, v[1:2], s[0:1]
.LBB57_16:
	s_endpgm
	.section	.rodata,"a",@progbits
	.p2align	6, 0x0
	.amdhsa_kernel _Z19reduce_valid_kernelILj37ELN6hipcub20BlockReduceAlgorithmE1ElEvPT1_S3_j
		.amdhsa_group_segment_fixed_size 296
		.amdhsa_private_segment_fixed_size 0
		.amdhsa_kernarg_size 20
		.amdhsa_user_sgpr_count 6
		.amdhsa_user_sgpr_private_segment_buffer 1
		.amdhsa_user_sgpr_dispatch_ptr 0
		.amdhsa_user_sgpr_queue_ptr 0
		.amdhsa_user_sgpr_kernarg_segment_ptr 1
		.amdhsa_user_sgpr_dispatch_id 0
		.amdhsa_user_sgpr_flat_scratch_init 0
		.amdhsa_user_sgpr_private_segment_size 0
		.amdhsa_uses_dynamic_stack 0
		.amdhsa_system_sgpr_private_segment_wavefront_offset 0
		.amdhsa_system_sgpr_workgroup_id_x 1
		.amdhsa_system_sgpr_workgroup_id_y 0
		.amdhsa_system_sgpr_workgroup_id_z 0
		.amdhsa_system_sgpr_workgroup_info 0
		.amdhsa_system_vgpr_workitem_id 0
		.amdhsa_next_free_vgpr 9
		.amdhsa_next_free_sgpr 8
		.amdhsa_reserve_vcc 1
		.amdhsa_reserve_flat_scratch 0
		.amdhsa_float_round_mode_32 0
		.amdhsa_float_round_mode_16_64 0
		.amdhsa_float_denorm_mode_32 3
		.amdhsa_float_denorm_mode_16_64 3
		.amdhsa_dx10_clamp 1
		.amdhsa_ieee_mode 1
		.amdhsa_fp16_overflow 0
		.amdhsa_exception_fp_ieee_invalid_op 0
		.amdhsa_exception_fp_denorm_src 0
		.amdhsa_exception_fp_ieee_div_zero 0
		.amdhsa_exception_fp_ieee_overflow 0
		.amdhsa_exception_fp_ieee_underflow 0
		.amdhsa_exception_fp_ieee_inexact 0
		.amdhsa_exception_int_div_zero 0
	.end_amdhsa_kernel
	.section	.text._Z19reduce_valid_kernelILj37ELN6hipcub20BlockReduceAlgorithmE1ElEvPT1_S3_j,"axG",@progbits,_Z19reduce_valid_kernelILj37ELN6hipcub20BlockReduceAlgorithmE1ElEvPT1_S3_j,comdat
.Lfunc_end57:
	.size	_Z19reduce_valid_kernelILj37ELN6hipcub20BlockReduceAlgorithmE1ElEvPT1_S3_j, .Lfunc_end57-_Z19reduce_valid_kernelILj37ELN6hipcub20BlockReduceAlgorithmE1ElEvPT1_S3_j
                                        ; -- End function
	.set _Z19reduce_valid_kernelILj37ELN6hipcub20BlockReduceAlgorithmE1ElEvPT1_S3_j.num_vgpr, 9
	.set _Z19reduce_valid_kernelILj37ELN6hipcub20BlockReduceAlgorithmE1ElEvPT1_S3_j.num_agpr, 0
	.set _Z19reduce_valid_kernelILj37ELN6hipcub20BlockReduceAlgorithmE1ElEvPT1_S3_j.numbered_sgpr, 8
	.set _Z19reduce_valid_kernelILj37ELN6hipcub20BlockReduceAlgorithmE1ElEvPT1_S3_j.num_named_barrier, 0
	.set _Z19reduce_valid_kernelILj37ELN6hipcub20BlockReduceAlgorithmE1ElEvPT1_S3_j.private_seg_size, 0
	.set _Z19reduce_valid_kernelILj37ELN6hipcub20BlockReduceAlgorithmE1ElEvPT1_S3_j.uses_vcc, 1
	.set _Z19reduce_valid_kernelILj37ELN6hipcub20BlockReduceAlgorithmE1ElEvPT1_S3_j.uses_flat_scratch, 0
	.set _Z19reduce_valid_kernelILj37ELN6hipcub20BlockReduceAlgorithmE1ElEvPT1_S3_j.has_dyn_sized_stack, 0
	.set _Z19reduce_valid_kernelILj37ELN6hipcub20BlockReduceAlgorithmE1ElEvPT1_S3_j.has_recursion, 0
	.set _Z19reduce_valid_kernelILj37ELN6hipcub20BlockReduceAlgorithmE1ElEvPT1_S3_j.has_indirect_call, 0
	.section	.AMDGPU.csdata,"",@progbits
; Kernel info:
; codeLenInByte = 680
; TotalNumSgprs: 12
; NumVgprs: 9
; ScratchSize: 0
; MemoryBound: 0
; FloatMode: 240
; IeeeMode: 1
; LDSByteSize: 296 bytes/workgroup (compile time only)
; SGPRBlocks: 1
; VGPRBlocks: 2
; NumSGPRsForWavesPerEU: 12
; NumVGPRsForWavesPerEU: 9
; Occupancy: 10
; WaveLimiterHint : 0
; COMPUTE_PGM_RSRC2:SCRATCH_EN: 0
; COMPUTE_PGM_RSRC2:USER_SGPR: 6
; COMPUTE_PGM_RSRC2:TRAP_HANDLER: 0
; COMPUTE_PGM_RSRC2:TGID_X_EN: 1
; COMPUTE_PGM_RSRC2:TGID_Y_EN: 0
; COMPUTE_PGM_RSRC2:TGID_Z_EN: 0
; COMPUTE_PGM_RSRC2:TIDIG_COMP_CNT: 0
	.section	.text._Z19reduce_valid_kernelILj65ELN6hipcub20BlockReduceAlgorithmE1EmEvPT1_S3_j,"axG",@progbits,_Z19reduce_valid_kernelILj65ELN6hipcub20BlockReduceAlgorithmE1EmEvPT1_S3_j,comdat
	.protected	_Z19reduce_valid_kernelILj65ELN6hipcub20BlockReduceAlgorithmE1EmEvPT1_S3_j ; -- Begin function _Z19reduce_valid_kernelILj65ELN6hipcub20BlockReduceAlgorithmE1EmEvPT1_S3_j
	.globl	_Z19reduce_valid_kernelILj65ELN6hipcub20BlockReduceAlgorithmE1EmEvPT1_S3_j
	.p2align	8
	.type	_Z19reduce_valid_kernelILj65ELN6hipcub20BlockReduceAlgorithmE1EmEvPT1_S3_j,@function
_Z19reduce_valid_kernelILj65ELN6hipcub20BlockReduceAlgorithmE1EmEvPT1_S3_j: ; @_Z19reduce_valid_kernelILj65ELN6hipcub20BlockReduceAlgorithmE1EmEvPT1_S3_j
; %bb.0:
	s_load_dwordx4 s[0:3], s[4:5], 0x0
	s_load_dword s7, s[4:5], 0x10
	s_mul_i32 s4, s6, 0x41
	v_add_u32_e32 v1, s4, v0
	v_mov_b32_e32 v2, 0
	v_lshlrev_b64 v[1:2], 3, v[1:2]
	s_waitcnt lgkmcnt(0)
	v_mov_b32_e32 v3, s1
	v_add_co_u32_e32 v1, vcc, s0, v1
	v_addc_co_u32_e32 v2, vcc, v3, v2, vcc
	global_load_dwordx2 v[1:2], v[1:2], off
	v_cmp_gt_u32_e32 vcc, s7, v0
	s_and_saveexec_b64 s[0:1], vcc
	s_cbranch_execz .LBB58_2
; %bb.1:
	v_lshlrev_b32_e32 v3, 2, v0
	s_waitcnt vmcnt(0)
	ds_write2_b32 v3, v1, v2 offset1:65
.LBB58_2:
	s_or_b64 exec, exec, s[0:1]
	v_lshlrev_b32_e32 v3, 1, v0
	v_cmp_gt_u32_e32 vcc, s7, v3
	s_waitcnt vmcnt(0) lgkmcnt(0)
	s_barrier
	s_and_saveexec_b64 s[0:1], vcc
	s_cbranch_execz .LBB58_16
; %bb.3:
	v_lshlrev_b32_e32 v4, 2, v3
	ds_read2_b32 v[1:2], v4 offset1:65
	v_or_b32_e32 v3, 1, v3
	v_cmp_gt_u32_e32 vcc, s7, v3
	s_and_saveexec_b64 s[4:5], vcc
	s_cbranch_execz .LBB58_5
; %bb.4:
	ds_read2_b32 v[3:4], v4 offset0:1 offset1:66
	s_waitcnt lgkmcnt(0)
	v_add_co_u32_e32 v1, vcc, v3, v1
	v_addc_co_u32_e32 v2, vcc, v4, v2, vcc
.LBB58_5:
	s_or_b64 exec, exec, s[4:5]
	v_mbcnt_lo_u32_b32 v3, -1, 0
	v_mbcnt_hi_u32_b32 v3, -1, v3
	v_and_b32_e32 v5, 63, v3
	v_cmp_ne_u32_e32 vcc, 63, v5
	v_addc_co_u32_e32 v4, vcc, 0, v3, vcc
	v_lshlrev_b32_e32 v4, 2, v4
	s_waitcnt lgkmcnt(0)
	ds_bpermute_b32 v7, v4, v1
	ds_bpermute_b32 v6, v4, v2
	s_add_i32 s7, s7, 1
	s_lshr_b32 s7, s7, 1
	v_add_u32_e32 v4, 1, v3
	v_cmp_gt_u32_e32 vcc, s7, v4
	v_mov_b32_e32 v4, v1
	s_and_saveexec_b64 s[4:5], vcc
	s_xor_b64 s[4:5], exec, s[4:5]
	s_cbranch_execz .LBB58_7
; %bb.6:
	s_waitcnt lgkmcnt(1)
	v_add_co_u32_e32 v4, vcc, v1, v7
	v_addc_co_u32_e32 v2, vcc, 0, v2, vcc
	v_add_co_u32_e32 v1, vcc, 0, v4
	s_waitcnt lgkmcnt(0)
	v_addc_co_u32_e32 v2, vcc, v6, v2, vcc
.LBB58_7:
	s_or_b64 exec, exec, s[4:5]
	v_cmp_gt_u32_e32 vcc, 62, v5
	s_waitcnt lgkmcnt(0)
	v_cndmask_b32_e64 v6, 0, 2, vcc
	v_add_lshl_u32 v6, v6, v3, 2
	ds_bpermute_b32 v7, v6, v4
	ds_bpermute_b32 v6, v6, v2
	v_add_u32_e32 v8, 2, v3
	v_cmp_gt_u32_e32 vcc, s7, v8
	s_and_saveexec_b64 s[4:5], vcc
	s_cbranch_execz .LBB58_9
; %bb.8:
	s_waitcnt lgkmcnt(1)
	v_add_co_u32_e32 v4, vcc, v1, v7
	v_addc_co_u32_e32 v2, vcc, 0, v2, vcc
	v_add_co_u32_e32 v1, vcc, 0, v4
	s_waitcnt lgkmcnt(0)
	v_addc_co_u32_e32 v2, vcc, v6, v2, vcc
.LBB58_9:
	s_or_b64 exec, exec, s[4:5]
	v_cmp_gt_u32_e32 vcc, 60, v5
	s_waitcnt lgkmcnt(0)
	v_cndmask_b32_e64 v6, 0, 4, vcc
	v_add_lshl_u32 v6, v6, v3, 2
	ds_bpermute_b32 v7, v6, v4
	ds_bpermute_b32 v6, v6, v2
	v_add_u32_e32 v8, 4, v3
	v_cmp_gt_u32_e32 vcc, s7, v8
	s_and_saveexec_b64 s[4:5], vcc
	;; [unrolled: 19-line block ×3, first 2 shown]
	s_cbranch_execz .LBB58_13
; %bb.12:
	s_waitcnt lgkmcnt(1)
	v_add_co_u32_e32 v4, vcc, v1, v7
	v_addc_co_u32_e32 v2, vcc, 0, v2, vcc
	v_add_co_u32_e32 v1, vcc, 0, v4
	s_waitcnt lgkmcnt(0)
	v_addc_co_u32_e32 v2, vcc, v6, v2, vcc
.LBB58_13:
	s_or_b64 exec, exec, s[4:5]
	v_cmp_gt_u32_e32 vcc, 48, v5
	v_cndmask_b32_e64 v5, 0, 16, vcc
	v_add_lshl_u32 v5, v5, v3, 2
	s_waitcnt lgkmcnt(0)
	ds_bpermute_b32 v6, v5, v4
	ds_bpermute_b32 v5, v5, v2
	v_add_u32_e32 v7, 16, v3
	v_cmp_gt_u32_e32 vcc, s7, v7
	s_and_saveexec_b64 s[4:5], vcc
	s_cbranch_execz .LBB58_15
; %bb.14:
	s_waitcnt lgkmcnt(1)
	v_add_co_u32_e32 v4, vcc, v1, v6
	v_addc_co_u32_e32 v2, vcc, 0, v2, vcc
	v_add_co_u32_e32 v1, vcc, 0, v4
	s_waitcnt lgkmcnt(0)
	v_addc_co_u32_e32 v2, vcc, v5, v2, vcc
.LBB58_15:
	s_or_b64 exec, exec, s[4:5]
	s_waitcnt lgkmcnt(0)
	v_mov_b32_e32 v5, 0x80
	v_lshl_or_b32 v5, v3, 2, v5
	ds_bpermute_b32 v4, v5, v4
	ds_bpermute_b32 v5, v5, v2
	v_add_u32_e32 v3, 32, v3
	s_waitcnt lgkmcnt(1)
	v_add_co_u32_e32 v4, vcc, v1, v4
	v_addc_co_u32_e32 v6, vcc, 0, v2, vcc
	v_add_co_u32_e32 v4, vcc, 0, v4
	s_waitcnt lgkmcnt(0)
	v_addc_co_u32_e32 v5, vcc, v6, v5, vcc
	v_cmp_gt_u32_e32 vcc, s7, v3
	v_cndmask_b32_e32 v2, v2, v5, vcc
	v_cndmask_b32_e32 v1, v1, v4, vcc
.LBB58_16:
	s_or_b64 exec, exec, s[0:1]
	s_mov_b32 s7, 0
	v_cmp_eq_u32_e32 vcc, 0, v0
	s_and_saveexec_b64 s[0:1], vcc
	s_cbranch_execz .LBB58_18
; %bb.17:
	s_lshl_b64 s[0:1], s[6:7], 3
	s_add_u32 s0, s2, s0
	s_addc_u32 s1, s3, s1
	v_mov_b32_e32 v0, 0
	global_store_dwordx2 v0, v[1:2], s[0:1]
.LBB58_18:
	s_endpgm
	.section	.rodata,"a",@progbits
	.p2align	6, 0x0
	.amdhsa_kernel _Z19reduce_valid_kernelILj65ELN6hipcub20BlockReduceAlgorithmE1EmEvPT1_S3_j
		.amdhsa_group_segment_fixed_size 520
		.amdhsa_private_segment_fixed_size 0
		.amdhsa_kernarg_size 20
		.amdhsa_user_sgpr_count 6
		.amdhsa_user_sgpr_private_segment_buffer 1
		.amdhsa_user_sgpr_dispatch_ptr 0
		.amdhsa_user_sgpr_queue_ptr 0
		.amdhsa_user_sgpr_kernarg_segment_ptr 1
		.amdhsa_user_sgpr_dispatch_id 0
		.amdhsa_user_sgpr_flat_scratch_init 0
		.amdhsa_user_sgpr_private_segment_size 0
		.amdhsa_uses_dynamic_stack 0
		.amdhsa_system_sgpr_private_segment_wavefront_offset 0
		.amdhsa_system_sgpr_workgroup_id_x 1
		.amdhsa_system_sgpr_workgroup_id_y 0
		.amdhsa_system_sgpr_workgroup_id_z 0
		.amdhsa_system_sgpr_workgroup_info 0
		.amdhsa_system_vgpr_workitem_id 0
		.amdhsa_next_free_vgpr 9
		.amdhsa_next_free_sgpr 8
		.amdhsa_reserve_vcc 1
		.amdhsa_reserve_flat_scratch 0
		.amdhsa_float_round_mode_32 0
		.amdhsa_float_round_mode_16_64 0
		.amdhsa_float_denorm_mode_32 3
		.amdhsa_float_denorm_mode_16_64 3
		.amdhsa_dx10_clamp 1
		.amdhsa_ieee_mode 1
		.amdhsa_fp16_overflow 0
		.amdhsa_exception_fp_ieee_invalid_op 0
		.amdhsa_exception_fp_denorm_src 0
		.amdhsa_exception_fp_ieee_div_zero 0
		.amdhsa_exception_fp_ieee_overflow 0
		.amdhsa_exception_fp_ieee_underflow 0
		.amdhsa_exception_fp_ieee_inexact 0
		.amdhsa_exception_int_div_zero 0
	.end_amdhsa_kernel
	.section	.text._Z19reduce_valid_kernelILj65ELN6hipcub20BlockReduceAlgorithmE1EmEvPT1_S3_j,"axG",@progbits,_Z19reduce_valid_kernelILj65ELN6hipcub20BlockReduceAlgorithmE1EmEvPT1_S3_j,comdat
.Lfunc_end58:
	.size	_Z19reduce_valid_kernelILj65ELN6hipcub20BlockReduceAlgorithmE1EmEvPT1_S3_j, .Lfunc_end58-_Z19reduce_valid_kernelILj65ELN6hipcub20BlockReduceAlgorithmE1EmEvPT1_S3_j
                                        ; -- End function
	.set _Z19reduce_valid_kernelILj65ELN6hipcub20BlockReduceAlgorithmE1EmEvPT1_S3_j.num_vgpr, 9
	.set _Z19reduce_valid_kernelILj65ELN6hipcub20BlockReduceAlgorithmE1EmEvPT1_S3_j.num_agpr, 0
	.set _Z19reduce_valid_kernelILj65ELN6hipcub20BlockReduceAlgorithmE1EmEvPT1_S3_j.numbered_sgpr, 8
	.set _Z19reduce_valid_kernelILj65ELN6hipcub20BlockReduceAlgorithmE1EmEvPT1_S3_j.num_named_barrier, 0
	.set _Z19reduce_valid_kernelILj65ELN6hipcub20BlockReduceAlgorithmE1EmEvPT1_S3_j.private_seg_size, 0
	.set _Z19reduce_valid_kernelILj65ELN6hipcub20BlockReduceAlgorithmE1EmEvPT1_S3_j.uses_vcc, 1
	.set _Z19reduce_valid_kernelILj65ELN6hipcub20BlockReduceAlgorithmE1EmEvPT1_S3_j.uses_flat_scratch, 0
	.set _Z19reduce_valid_kernelILj65ELN6hipcub20BlockReduceAlgorithmE1EmEvPT1_S3_j.has_dyn_sized_stack, 0
	.set _Z19reduce_valid_kernelILj65ELN6hipcub20BlockReduceAlgorithmE1EmEvPT1_S3_j.has_recursion, 0
	.set _Z19reduce_valid_kernelILj65ELN6hipcub20BlockReduceAlgorithmE1EmEvPT1_S3_j.has_indirect_call, 0
	.section	.AMDGPU.csdata,"",@progbits
; Kernel info:
; codeLenInByte = 744
; TotalNumSgprs: 12
; NumVgprs: 9
; ScratchSize: 0
; MemoryBound: 0
; FloatMode: 240
; IeeeMode: 1
; LDSByteSize: 520 bytes/workgroup (compile time only)
; SGPRBlocks: 1
; VGPRBlocks: 2
; NumSGPRsForWavesPerEU: 12
; NumVGPRsForWavesPerEU: 9
; Occupancy: 10
; WaveLimiterHint : 0
; COMPUTE_PGM_RSRC2:SCRATCH_EN: 0
; COMPUTE_PGM_RSRC2:USER_SGPR: 6
; COMPUTE_PGM_RSRC2:TRAP_HANDLER: 0
; COMPUTE_PGM_RSRC2:TGID_X_EN: 1
; COMPUTE_PGM_RSRC2:TGID_Y_EN: 0
; COMPUTE_PGM_RSRC2:TGID_Z_EN: 0
; COMPUTE_PGM_RSRC2:TIDIG_COMP_CNT: 0
	.section	.text._Z19reduce_valid_kernelILj1024ELN6hipcub20BlockReduceAlgorithmE1EiEvPT1_S3_j,"axG",@progbits,_Z19reduce_valid_kernelILj1024ELN6hipcub20BlockReduceAlgorithmE1EiEvPT1_S3_j,comdat
	.protected	_Z19reduce_valid_kernelILj1024ELN6hipcub20BlockReduceAlgorithmE1EiEvPT1_S3_j ; -- Begin function _Z19reduce_valid_kernelILj1024ELN6hipcub20BlockReduceAlgorithmE1EiEvPT1_S3_j
	.globl	_Z19reduce_valid_kernelILj1024ELN6hipcub20BlockReduceAlgorithmE1EiEvPT1_S3_j
	.p2align	8
	.type	_Z19reduce_valid_kernelILj1024ELN6hipcub20BlockReduceAlgorithmE1EiEvPT1_S3_j,@function
_Z19reduce_valid_kernelILj1024ELN6hipcub20BlockReduceAlgorithmE1EiEvPT1_S3_j: ; @_Z19reduce_valid_kernelILj1024ELN6hipcub20BlockReduceAlgorithmE1EiEvPT1_S3_j
; %bb.0:
	s_load_dwordx4 s[0:3], s[4:5], 0x0
	s_load_dword s7, s[4:5], 0x10
	v_lshl_or_b32 v1, s6, 10, v0
	v_mov_b32_e32 v2, 0
	v_lshlrev_b64 v[1:2], 2, v[1:2]
	s_waitcnt lgkmcnt(0)
	v_mov_b32_e32 v3, s1
	v_add_co_u32_e32 v1, vcc, s0, v1
	v_addc_co_u32_e32 v2, vcc, v3, v2, vcc
	global_load_dword v1, v[1:2], off
	v_cmp_gt_u32_e32 vcc, s7, v0
	s_and_saveexec_b64 s[0:1], vcc
	s_cbranch_execz .LBB59_2
; %bb.1:
	v_lshlrev_b32_e32 v2, 2, v0
	s_waitcnt vmcnt(0)
	ds_write_b32 v2, v1
.LBB59_2:
	s_or_b64 exec, exec, s[0:1]
	v_lshlrev_b32_e32 v2, 4, v0
	v_cmp_gt_u32_e32 vcc, s7, v2
	s_waitcnt vmcnt(0) lgkmcnt(0)
	s_barrier
	s_and_saveexec_b64 s[0:1], vcc
	s_cbranch_execz .LBB59_34
; %bb.3:
	v_lshlrev_b32_e32 v3, 2, v2
	ds_read_b32 v1, v3
	v_or_b32_e32 v4, 1, v2
	v_cmp_gt_u32_e32 vcc, s7, v4
	s_and_saveexec_b64 s[4:5], vcc
	s_cbranch_execz .LBB59_5
; %bb.4:
	ds_read_b32 v4, v3 offset:4
	s_waitcnt lgkmcnt(0)
	v_add_u32_e32 v1, v4, v1
.LBB59_5:
	s_or_b64 exec, exec, s[4:5]
	v_or_b32_e32 v4, 2, v2
	v_cmp_gt_u32_e32 vcc, s7, v4
	s_and_saveexec_b64 s[4:5], vcc
	s_cbranch_execz .LBB59_7
; %bb.6:
	ds_read_b32 v4, v3 offset:8
	s_waitcnt lgkmcnt(0)
	v_add_u32_e32 v1, v4, v1
.LBB59_7:
	s_or_b64 exec, exec, s[4:5]
	;; [unrolled: 10-line block ×15, first 2 shown]
	v_mbcnt_lo_u32_b32 v2, -1, 0
	v_mbcnt_hi_u32_b32 v2, -1, v2
	v_and_b32_e32 v3, 63, v2
	v_cmp_ne_u32_e32 vcc, 63, v3
	v_addc_co_u32_e32 v4, vcc, 0, v2, vcc
	v_lshlrev_b32_e32 v4, 2, v4
	s_waitcnt lgkmcnt(0)
	ds_bpermute_b32 v4, v4, v1
	s_add_i32 s7, s7, 15
	s_lshr_b32 s4, s7, 4
	v_add_u32_e32 v5, 1, v2
	v_cmp_gt_u32_e32 vcc, s4, v5
	s_waitcnt lgkmcnt(0)
	v_cndmask_b32_e32 v4, 0, v4, vcc
	v_cmp_gt_u32_e32 vcc, 62, v3
	v_add_u32_e32 v1, v4, v1
	v_cndmask_b32_e64 v4, 0, 2, vcc
	v_add_lshl_u32 v4, v4, v2, 2
	ds_bpermute_b32 v4, v4, v1
	v_add_u32_e32 v5, 2, v2
	v_cmp_gt_u32_e32 vcc, s4, v5
	v_add_u32_e32 v5, 4, v2
	s_waitcnt lgkmcnt(0)
	v_cndmask_b32_e32 v4, 0, v4, vcc
	v_cmp_gt_u32_e32 vcc, 60, v3
	v_add_u32_e32 v1, v1, v4
	v_cndmask_b32_e64 v4, 0, 4, vcc
	v_add_lshl_u32 v4, v4, v2, 2
	ds_bpermute_b32 v4, v4, v1
	v_cmp_gt_u32_e32 vcc, s4, v5
	v_add_u32_e32 v5, 8, v2
	s_waitcnt lgkmcnt(0)
	v_cndmask_b32_e32 v4, 0, v4, vcc
	v_cmp_gt_u32_e32 vcc, 56, v3
	v_add_u32_e32 v1, v1, v4
	v_cndmask_b32_e64 v4, 0, 8, vcc
	v_add_lshl_u32 v4, v4, v2, 2
	ds_bpermute_b32 v4, v4, v1
	v_cmp_gt_u32_e32 vcc, s4, v5
	s_waitcnt lgkmcnt(0)
	v_cndmask_b32_e32 v4, 0, v4, vcc
	v_cmp_gt_u32_e32 vcc, 48, v3
	v_cndmask_b32_e64 v3, 0, 16, vcc
	v_add_u32_e32 v1, v1, v4
	v_add_lshl_u32 v3, v3, v2, 2
	ds_bpermute_b32 v3, v3, v1
	v_add_u32_e32 v4, 16, v2
	v_cmp_gt_u32_e32 vcc, s4, v4
	s_waitcnt lgkmcnt(0)
	v_cndmask_b32_e32 v3, 0, v3, vcc
	v_add_u32_e32 v1, v1, v3
	v_mov_b32_e32 v3, 0x80
	v_lshl_or_b32 v3, v2, 2, v3
	ds_bpermute_b32 v3, v3, v1
	v_add_u32_e32 v2, 32, v2
	v_cmp_gt_u32_e32 vcc, s4, v2
	s_waitcnt lgkmcnt(0)
	v_cndmask_b32_e32 v2, 0, v3, vcc
	v_add_u32_e32 v1, v1, v2
.LBB59_34:
	s_or_b64 exec, exec, s[0:1]
	s_mov_b32 s7, 0
	v_cmp_eq_u32_e32 vcc, 0, v0
	s_and_saveexec_b64 s[0:1], vcc
	s_cbranch_execz .LBB59_36
; %bb.35:
	s_lshl_b64 s[0:1], s[6:7], 2
	s_add_u32 s0, s2, s0
	s_addc_u32 s1, s3, s1
	v_mov_b32_e32 v0, 0
	global_store_dword v0, v1, s[0:1]
.LBB59_36:
	s_endpgm
	.section	.rodata,"a",@progbits
	.p2align	6, 0x0
	.amdhsa_kernel _Z19reduce_valid_kernelILj1024ELN6hipcub20BlockReduceAlgorithmE1EiEvPT1_S3_j
		.amdhsa_group_segment_fixed_size 4096
		.amdhsa_private_segment_fixed_size 0
		.amdhsa_kernarg_size 20
		.amdhsa_user_sgpr_count 6
		.amdhsa_user_sgpr_private_segment_buffer 1
		.amdhsa_user_sgpr_dispatch_ptr 0
		.amdhsa_user_sgpr_queue_ptr 0
		.amdhsa_user_sgpr_kernarg_segment_ptr 1
		.amdhsa_user_sgpr_dispatch_id 0
		.amdhsa_user_sgpr_flat_scratch_init 0
		.amdhsa_user_sgpr_private_segment_size 0
		.amdhsa_uses_dynamic_stack 0
		.amdhsa_system_sgpr_private_segment_wavefront_offset 0
		.amdhsa_system_sgpr_workgroup_id_x 1
		.amdhsa_system_sgpr_workgroup_id_y 0
		.amdhsa_system_sgpr_workgroup_id_z 0
		.amdhsa_system_sgpr_workgroup_info 0
		.amdhsa_system_vgpr_workitem_id 0
		.amdhsa_next_free_vgpr 29
		.amdhsa_next_free_sgpr 61
		.amdhsa_reserve_vcc 1
		.amdhsa_reserve_flat_scratch 0
		.amdhsa_float_round_mode_32 0
		.amdhsa_float_round_mode_16_64 0
		.amdhsa_float_denorm_mode_32 3
		.amdhsa_float_denorm_mode_16_64 3
		.amdhsa_dx10_clamp 1
		.amdhsa_ieee_mode 1
		.amdhsa_fp16_overflow 0
		.amdhsa_exception_fp_ieee_invalid_op 0
		.amdhsa_exception_fp_denorm_src 0
		.amdhsa_exception_fp_ieee_div_zero 0
		.amdhsa_exception_fp_ieee_overflow 0
		.amdhsa_exception_fp_ieee_underflow 0
		.amdhsa_exception_fp_ieee_inexact 0
		.amdhsa_exception_int_div_zero 0
	.end_amdhsa_kernel
	.section	.text._Z19reduce_valid_kernelILj1024ELN6hipcub20BlockReduceAlgorithmE1EiEvPT1_S3_j,"axG",@progbits,_Z19reduce_valid_kernelILj1024ELN6hipcub20BlockReduceAlgorithmE1EiEvPT1_S3_j,comdat
.Lfunc_end59:
	.size	_Z19reduce_valid_kernelILj1024ELN6hipcub20BlockReduceAlgorithmE1EiEvPT1_S3_j, .Lfunc_end59-_Z19reduce_valid_kernelILj1024ELN6hipcub20BlockReduceAlgorithmE1EiEvPT1_S3_j
                                        ; -- End function
	.set _Z19reduce_valid_kernelILj1024ELN6hipcub20BlockReduceAlgorithmE1EiEvPT1_S3_j.num_vgpr, 6
	.set _Z19reduce_valid_kernelILj1024ELN6hipcub20BlockReduceAlgorithmE1EiEvPT1_S3_j.num_agpr, 0
	.set _Z19reduce_valid_kernelILj1024ELN6hipcub20BlockReduceAlgorithmE1EiEvPT1_S3_j.numbered_sgpr, 8
	.set _Z19reduce_valid_kernelILj1024ELN6hipcub20BlockReduceAlgorithmE1EiEvPT1_S3_j.num_named_barrier, 0
	.set _Z19reduce_valid_kernelILj1024ELN6hipcub20BlockReduceAlgorithmE1EiEvPT1_S3_j.private_seg_size, 0
	.set _Z19reduce_valid_kernelILj1024ELN6hipcub20BlockReduceAlgorithmE1EiEvPT1_S3_j.uses_vcc, 1
	.set _Z19reduce_valid_kernelILj1024ELN6hipcub20BlockReduceAlgorithmE1EiEvPT1_S3_j.uses_flat_scratch, 0
	.set _Z19reduce_valid_kernelILj1024ELN6hipcub20BlockReduceAlgorithmE1EiEvPT1_S3_j.has_dyn_sized_stack, 0
	.set _Z19reduce_valid_kernelILj1024ELN6hipcub20BlockReduceAlgorithmE1EiEvPT1_S3_j.has_recursion, 0
	.set _Z19reduce_valid_kernelILj1024ELN6hipcub20BlockReduceAlgorithmE1EiEvPT1_S3_j.has_indirect_call, 0
	.section	.AMDGPU.csdata,"",@progbits
; Kernel info:
; codeLenInByte = 1024
; TotalNumSgprs: 12
; NumVgprs: 6
; ScratchSize: 0
; MemoryBound: 0
; FloatMode: 240
; IeeeMode: 1
; LDSByteSize: 4096 bytes/workgroup (compile time only)
; SGPRBlocks: 8
; VGPRBlocks: 7
; NumSGPRsForWavesPerEU: 65
; NumVGPRsForWavesPerEU: 29
; Occupancy: 8
; WaveLimiterHint : 0
; COMPUTE_PGM_RSRC2:SCRATCH_EN: 0
; COMPUTE_PGM_RSRC2:USER_SGPR: 6
; COMPUTE_PGM_RSRC2:TRAP_HANDLER: 0
; COMPUTE_PGM_RSRC2:TGID_X_EN: 1
; COMPUTE_PGM_RSRC2:TGID_Y_EN: 0
; COMPUTE_PGM_RSRC2:TGID_Z_EN: 0
; COMPUTE_PGM_RSRC2:TIDIG_COMP_CNT: 0
	.section	.text._Z19reduce_valid_kernelILj512ELN6hipcub20BlockReduceAlgorithmE1EiEvPT1_S3_j,"axG",@progbits,_Z19reduce_valid_kernelILj512ELN6hipcub20BlockReduceAlgorithmE1EiEvPT1_S3_j,comdat
	.protected	_Z19reduce_valid_kernelILj512ELN6hipcub20BlockReduceAlgorithmE1EiEvPT1_S3_j ; -- Begin function _Z19reduce_valid_kernelILj512ELN6hipcub20BlockReduceAlgorithmE1EiEvPT1_S3_j
	.globl	_Z19reduce_valid_kernelILj512ELN6hipcub20BlockReduceAlgorithmE1EiEvPT1_S3_j
	.p2align	8
	.type	_Z19reduce_valid_kernelILj512ELN6hipcub20BlockReduceAlgorithmE1EiEvPT1_S3_j,@function
_Z19reduce_valid_kernelILj512ELN6hipcub20BlockReduceAlgorithmE1EiEvPT1_S3_j: ; @_Z19reduce_valid_kernelILj512ELN6hipcub20BlockReduceAlgorithmE1EiEvPT1_S3_j
; %bb.0:
	s_load_dwordx4 s[0:3], s[4:5], 0x0
	s_load_dword s7, s[4:5], 0x10
	v_lshl_or_b32 v1, s6, 9, v0
	v_mov_b32_e32 v2, 0
	v_lshlrev_b64 v[1:2], 2, v[1:2]
	s_waitcnt lgkmcnt(0)
	v_mov_b32_e32 v3, s1
	v_add_co_u32_e32 v1, vcc, s0, v1
	v_addc_co_u32_e32 v2, vcc, v3, v2, vcc
	global_load_dword v1, v[1:2], off
	v_cmp_gt_u32_e32 vcc, s7, v0
	s_and_saveexec_b64 s[0:1], vcc
	s_cbranch_execz .LBB60_2
; %bb.1:
	v_lshlrev_b32_e32 v2, 2, v0
	s_waitcnt vmcnt(0)
	ds_write_b32 v2, v1
.LBB60_2:
	s_or_b64 exec, exec, s[0:1]
	v_lshlrev_b32_e32 v2, 3, v0
	v_cmp_gt_u32_e32 vcc, s7, v2
	s_waitcnt vmcnt(0) lgkmcnt(0)
	s_barrier
	s_and_saveexec_b64 s[0:1], vcc
	s_cbranch_execz .LBB60_18
; %bb.3:
	v_lshlrev_b32_e32 v3, 2, v2
	ds_read_b32 v1, v3
	v_or_b32_e32 v4, 1, v2
	v_cmp_gt_u32_e32 vcc, s7, v4
	s_and_saveexec_b64 s[4:5], vcc
	s_cbranch_execz .LBB60_5
; %bb.4:
	ds_read_b32 v4, v3 offset:4
	s_waitcnt lgkmcnt(0)
	v_add_u32_e32 v1, v4, v1
.LBB60_5:
	s_or_b64 exec, exec, s[4:5]
	v_or_b32_e32 v4, 2, v2
	v_cmp_gt_u32_e32 vcc, s7, v4
	s_and_saveexec_b64 s[4:5], vcc
	s_cbranch_execz .LBB60_7
; %bb.6:
	ds_read_b32 v4, v3 offset:8
	s_waitcnt lgkmcnt(0)
	v_add_u32_e32 v1, v4, v1
.LBB60_7:
	s_or_b64 exec, exec, s[4:5]
	;; [unrolled: 10-line block ×7, first 2 shown]
	v_mbcnt_lo_u32_b32 v2, -1, 0
	v_mbcnt_hi_u32_b32 v2, -1, v2
	v_and_b32_e32 v3, 63, v2
	v_cmp_ne_u32_e32 vcc, 63, v3
	v_addc_co_u32_e32 v4, vcc, 0, v2, vcc
	v_lshlrev_b32_e32 v4, 2, v4
	s_waitcnt lgkmcnt(0)
	ds_bpermute_b32 v4, v4, v1
	s_add_i32 s7, s7, 7
	s_lshr_b32 s4, s7, 3
	v_add_u32_e32 v5, 1, v2
	v_cmp_gt_u32_e32 vcc, s4, v5
	s_waitcnt lgkmcnt(0)
	v_cndmask_b32_e32 v4, 0, v4, vcc
	v_cmp_gt_u32_e32 vcc, 62, v3
	v_add_u32_e32 v1, v4, v1
	v_cndmask_b32_e64 v4, 0, 2, vcc
	v_add_lshl_u32 v4, v4, v2, 2
	ds_bpermute_b32 v4, v4, v1
	v_add_u32_e32 v5, 2, v2
	v_cmp_gt_u32_e32 vcc, s4, v5
	v_add_u32_e32 v5, 4, v2
	s_waitcnt lgkmcnt(0)
	v_cndmask_b32_e32 v4, 0, v4, vcc
	v_cmp_gt_u32_e32 vcc, 60, v3
	v_add_u32_e32 v1, v1, v4
	v_cndmask_b32_e64 v4, 0, 4, vcc
	v_add_lshl_u32 v4, v4, v2, 2
	ds_bpermute_b32 v4, v4, v1
	v_cmp_gt_u32_e32 vcc, s4, v5
	v_add_u32_e32 v5, 8, v2
	s_waitcnt lgkmcnt(0)
	v_cndmask_b32_e32 v4, 0, v4, vcc
	v_cmp_gt_u32_e32 vcc, 56, v3
	v_add_u32_e32 v1, v1, v4
	v_cndmask_b32_e64 v4, 0, 8, vcc
	v_add_lshl_u32 v4, v4, v2, 2
	ds_bpermute_b32 v4, v4, v1
	v_cmp_gt_u32_e32 vcc, s4, v5
	s_waitcnt lgkmcnt(0)
	v_cndmask_b32_e32 v4, 0, v4, vcc
	v_cmp_gt_u32_e32 vcc, 48, v3
	v_cndmask_b32_e64 v3, 0, 16, vcc
	v_add_u32_e32 v1, v1, v4
	v_add_lshl_u32 v3, v3, v2, 2
	ds_bpermute_b32 v3, v3, v1
	v_add_u32_e32 v4, 16, v2
	v_cmp_gt_u32_e32 vcc, s4, v4
	s_waitcnt lgkmcnt(0)
	v_cndmask_b32_e32 v3, 0, v3, vcc
	v_add_u32_e32 v1, v1, v3
	v_mov_b32_e32 v3, 0x80
	v_lshl_or_b32 v3, v2, 2, v3
	ds_bpermute_b32 v3, v3, v1
	v_add_u32_e32 v2, 32, v2
	v_cmp_gt_u32_e32 vcc, s4, v2
	s_waitcnt lgkmcnt(0)
	v_cndmask_b32_e32 v2, 0, v3, vcc
	v_add_u32_e32 v1, v1, v2
.LBB60_18:
	s_or_b64 exec, exec, s[0:1]
	s_mov_b32 s7, 0
	v_cmp_eq_u32_e32 vcc, 0, v0
	s_and_saveexec_b64 s[0:1], vcc
	s_cbranch_execz .LBB60_20
; %bb.19:
	s_lshl_b64 s[0:1], s[6:7], 2
	s_add_u32 s0, s2, s0
	s_addc_u32 s1, s3, s1
	v_mov_b32_e32 v0, 0
	global_store_dword v0, v1, s[0:1]
.LBB60_20:
	s_endpgm
	.section	.rodata,"a",@progbits
	.p2align	6, 0x0
	.amdhsa_kernel _Z19reduce_valid_kernelILj512ELN6hipcub20BlockReduceAlgorithmE1EiEvPT1_S3_j
		.amdhsa_group_segment_fixed_size 2048
		.amdhsa_private_segment_fixed_size 0
		.amdhsa_kernarg_size 20
		.amdhsa_user_sgpr_count 6
		.amdhsa_user_sgpr_private_segment_buffer 1
		.amdhsa_user_sgpr_dispatch_ptr 0
		.amdhsa_user_sgpr_queue_ptr 0
		.amdhsa_user_sgpr_kernarg_segment_ptr 1
		.amdhsa_user_sgpr_dispatch_id 0
		.amdhsa_user_sgpr_flat_scratch_init 0
		.amdhsa_user_sgpr_private_segment_size 0
		.amdhsa_uses_dynamic_stack 0
		.amdhsa_system_sgpr_private_segment_wavefront_offset 0
		.amdhsa_system_sgpr_workgroup_id_x 1
		.amdhsa_system_sgpr_workgroup_id_y 0
		.amdhsa_system_sgpr_workgroup_id_z 0
		.amdhsa_system_sgpr_workgroup_info 0
		.amdhsa_system_vgpr_workitem_id 0
		.amdhsa_next_free_vgpr 6
		.amdhsa_next_free_sgpr 8
		.amdhsa_reserve_vcc 1
		.amdhsa_reserve_flat_scratch 0
		.amdhsa_float_round_mode_32 0
		.amdhsa_float_round_mode_16_64 0
		.amdhsa_float_denorm_mode_32 3
		.amdhsa_float_denorm_mode_16_64 3
		.amdhsa_dx10_clamp 1
		.amdhsa_ieee_mode 1
		.amdhsa_fp16_overflow 0
		.amdhsa_exception_fp_ieee_invalid_op 0
		.amdhsa_exception_fp_denorm_src 0
		.amdhsa_exception_fp_ieee_div_zero 0
		.amdhsa_exception_fp_ieee_overflow 0
		.amdhsa_exception_fp_ieee_underflow 0
		.amdhsa_exception_fp_ieee_inexact 0
		.amdhsa_exception_int_div_zero 0
	.end_amdhsa_kernel
	.section	.text._Z19reduce_valid_kernelILj512ELN6hipcub20BlockReduceAlgorithmE1EiEvPT1_S3_j,"axG",@progbits,_Z19reduce_valid_kernelILj512ELN6hipcub20BlockReduceAlgorithmE1EiEvPT1_S3_j,comdat
.Lfunc_end60:
	.size	_Z19reduce_valid_kernelILj512ELN6hipcub20BlockReduceAlgorithmE1EiEvPT1_S3_j, .Lfunc_end60-_Z19reduce_valid_kernelILj512ELN6hipcub20BlockReduceAlgorithmE1EiEvPT1_S3_j
                                        ; -- End function
	.set _Z19reduce_valid_kernelILj512ELN6hipcub20BlockReduceAlgorithmE1EiEvPT1_S3_j.num_vgpr, 6
	.set _Z19reduce_valid_kernelILj512ELN6hipcub20BlockReduceAlgorithmE1EiEvPT1_S3_j.num_agpr, 0
	.set _Z19reduce_valid_kernelILj512ELN6hipcub20BlockReduceAlgorithmE1EiEvPT1_S3_j.numbered_sgpr, 8
	.set _Z19reduce_valid_kernelILj512ELN6hipcub20BlockReduceAlgorithmE1EiEvPT1_S3_j.num_named_barrier, 0
	.set _Z19reduce_valid_kernelILj512ELN6hipcub20BlockReduceAlgorithmE1EiEvPT1_S3_j.private_seg_size, 0
	.set _Z19reduce_valid_kernelILj512ELN6hipcub20BlockReduceAlgorithmE1EiEvPT1_S3_j.uses_vcc, 1
	.set _Z19reduce_valid_kernelILj512ELN6hipcub20BlockReduceAlgorithmE1EiEvPT1_S3_j.uses_flat_scratch, 0
	.set _Z19reduce_valid_kernelILj512ELN6hipcub20BlockReduceAlgorithmE1EiEvPT1_S3_j.has_dyn_sized_stack, 0
	.set _Z19reduce_valid_kernelILj512ELN6hipcub20BlockReduceAlgorithmE1EiEvPT1_S3_j.has_recursion, 0
	.set _Z19reduce_valid_kernelILj512ELN6hipcub20BlockReduceAlgorithmE1EiEvPT1_S3_j.has_indirect_call, 0
	.section	.AMDGPU.csdata,"",@progbits
; Kernel info:
; codeLenInByte = 736
; TotalNumSgprs: 12
; NumVgprs: 6
; ScratchSize: 0
; MemoryBound: 0
; FloatMode: 240
; IeeeMode: 1
; LDSByteSize: 2048 bytes/workgroup (compile time only)
; SGPRBlocks: 1
; VGPRBlocks: 1
; NumSGPRsForWavesPerEU: 12
; NumVGPRsForWavesPerEU: 6
; Occupancy: 10
; WaveLimiterHint : 0
; COMPUTE_PGM_RSRC2:SCRATCH_EN: 0
; COMPUTE_PGM_RSRC2:USER_SGPR: 6
; COMPUTE_PGM_RSRC2:TRAP_HANDLER: 0
; COMPUTE_PGM_RSRC2:TGID_X_EN: 1
; COMPUTE_PGM_RSRC2:TGID_Y_EN: 0
; COMPUTE_PGM_RSRC2:TGID_Z_EN: 0
; COMPUTE_PGM_RSRC2:TIDIG_COMP_CNT: 0
	.section	.text._Z19reduce_valid_kernelILj256ELN6hipcub20BlockReduceAlgorithmE1EiEvPT1_S3_j,"axG",@progbits,_Z19reduce_valid_kernelILj256ELN6hipcub20BlockReduceAlgorithmE1EiEvPT1_S3_j,comdat
	.protected	_Z19reduce_valid_kernelILj256ELN6hipcub20BlockReduceAlgorithmE1EiEvPT1_S3_j ; -- Begin function _Z19reduce_valid_kernelILj256ELN6hipcub20BlockReduceAlgorithmE1EiEvPT1_S3_j
	.globl	_Z19reduce_valid_kernelILj256ELN6hipcub20BlockReduceAlgorithmE1EiEvPT1_S3_j
	.p2align	8
	.type	_Z19reduce_valid_kernelILj256ELN6hipcub20BlockReduceAlgorithmE1EiEvPT1_S3_j,@function
_Z19reduce_valid_kernelILj256ELN6hipcub20BlockReduceAlgorithmE1EiEvPT1_S3_j: ; @_Z19reduce_valid_kernelILj256ELN6hipcub20BlockReduceAlgorithmE1EiEvPT1_S3_j
; %bb.0:
	s_load_dwordx4 s[0:3], s[4:5], 0x0
	s_load_dword s7, s[4:5], 0x10
	v_lshl_or_b32 v1, s6, 8, v0
	v_mov_b32_e32 v2, 0
	v_lshlrev_b64 v[1:2], 2, v[1:2]
	s_waitcnt lgkmcnt(0)
	v_mov_b32_e32 v3, s1
	v_add_co_u32_e32 v1, vcc, s0, v1
	v_addc_co_u32_e32 v2, vcc, v3, v2, vcc
	global_load_dword v1, v[1:2], off
	v_cmp_gt_u32_e32 vcc, s7, v0
	v_lshlrev_b32_e32 v2, 2, v0
	s_and_saveexec_b64 s[0:1], vcc
	s_cbranch_execz .LBB61_2
; %bb.1:
	s_waitcnt vmcnt(0)
	ds_write_b32 v2, v1
.LBB61_2:
	s_or_b64 exec, exec, s[0:1]
	v_cmp_gt_u32_e32 vcc, s7, v2
	s_waitcnt vmcnt(0) lgkmcnt(0)
	s_barrier
	s_and_saveexec_b64 s[0:1], vcc
	s_cbranch_execz .LBB61_10
; %bb.3:
	v_lshlrev_b32_e32 v3, 2, v2
	ds_read_b32 v1, v3
	v_or_b32_e32 v4, 1, v2
	v_cmp_gt_u32_e32 vcc, s7, v4
	s_and_saveexec_b64 s[4:5], vcc
	s_cbranch_execz .LBB61_5
; %bb.4:
	ds_read_b32 v4, v3 offset:4
	s_waitcnt lgkmcnt(0)
	v_add_u32_e32 v1, v4, v1
.LBB61_5:
	s_or_b64 exec, exec, s[4:5]
	v_or_b32_e32 v4, 2, v2
	v_cmp_gt_u32_e32 vcc, s7, v4
	s_and_saveexec_b64 s[4:5], vcc
	s_cbranch_execz .LBB61_7
; %bb.6:
	ds_read_b32 v4, v3 offset:8
	s_waitcnt lgkmcnt(0)
	v_add_u32_e32 v1, v4, v1
.LBB61_7:
	s_or_b64 exec, exec, s[4:5]
	;; [unrolled: 10-line block ×3, first 2 shown]
	v_mbcnt_lo_u32_b32 v2, -1, 0
	v_mbcnt_hi_u32_b32 v2, -1, v2
	v_and_b32_e32 v3, 63, v2
	v_cmp_ne_u32_e32 vcc, 63, v3
	v_addc_co_u32_e32 v4, vcc, 0, v2, vcc
	v_lshlrev_b32_e32 v4, 2, v4
	s_waitcnt lgkmcnt(0)
	ds_bpermute_b32 v4, v4, v1
	s_add_i32 s7, s7, 3
	s_lshr_b32 s4, s7, 2
	v_add_u32_e32 v5, 1, v2
	v_cmp_gt_u32_e32 vcc, s4, v5
	s_waitcnt lgkmcnt(0)
	v_cndmask_b32_e32 v4, 0, v4, vcc
	v_cmp_gt_u32_e32 vcc, 62, v3
	v_add_u32_e32 v1, v4, v1
	v_cndmask_b32_e64 v4, 0, 2, vcc
	v_add_lshl_u32 v4, v4, v2, 2
	ds_bpermute_b32 v4, v4, v1
	v_add_u32_e32 v5, 2, v2
	v_cmp_gt_u32_e32 vcc, s4, v5
	v_add_u32_e32 v5, 4, v2
	s_waitcnt lgkmcnt(0)
	v_cndmask_b32_e32 v4, 0, v4, vcc
	v_cmp_gt_u32_e32 vcc, 60, v3
	v_add_u32_e32 v1, v1, v4
	v_cndmask_b32_e64 v4, 0, 4, vcc
	v_add_lshl_u32 v4, v4, v2, 2
	ds_bpermute_b32 v4, v4, v1
	v_cmp_gt_u32_e32 vcc, s4, v5
	v_add_u32_e32 v5, 8, v2
	s_waitcnt lgkmcnt(0)
	v_cndmask_b32_e32 v4, 0, v4, vcc
	v_cmp_gt_u32_e32 vcc, 56, v3
	v_add_u32_e32 v1, v1, v4
	v_cndmask_b32_e64 v4, 0, 8, vcc
	v_add_lshl_u32 v4, v4, v2, 2
	ds_bpermute_b32 v4, v4, v1
	v_cmp_gt_u32_e32 vcc, s4, v5
	s_waitcnt lgkmcnt(0)
	v_cndmask_b32_e32 v4, 0, v4, vcc
	v_cmp_gt_u32_e32 vcc, 48, v3
	v_cndmask_b32_e64 v3, 0, 16, vcc
	v_add_u32_e32 v1, v1, v4
	v_add_lshl_u32 v3, v3, v2, 2
	ds_bpermute_b32 v3, v3, v1
	v_add_u32_e32 v4, 16, v2
	v_cmp_gt_u32_e32 vcc, s4, v4
	s_waitcnt lgkmcnt(0)
	v_cndmask_b32_e32 v3, 0, v3, vcc
	v_add_u32_e32 v1, v1, v3
	v_mov_b32_e32 v3, 0x80
	v_lshl_or_b32 v3, v2, 2, v3
	ds_bpermute_b32 v3, v3, v1
	v_add_u32_e32 v2, 32, v2
	v_cmp_gt_u32_e32 vcc, s4, v2
	s_waitcnt lgkmcnt(0)
	v_cndmask_b32_e32 v2, 0, v3, vcc
	v_add_u32_e32 v1, v1, v2
.LBB61_10:
	s_or_b64 exec, exec, s[0:1]
	s_mov_b32 s7, 0
	v_cmp_eq_u32_e32 vcc, 0, v0
	s_and_saveexec_b64 s[0:1], vcc
	s_cbranch_execz .LBB61_12
; %bb.11:
	s_lshl_b64 s[0:1], s[6:7], 2
	s_add_u32 s0, s2, s0
	s_addc_u32 s1, s3, s1
	v_mov_b32_e32 v0, 0
	global_store_dword v0, v1, s[0:1]
.LBB61_12:
	s_endpgm
	.section	.rodata,"a",@progbits
	.p2align	6, 0x0
	.amdhsa_kernel _Z19reduce_valid_kernelILj256ELN6hipcub20BlockReduceAlgorithmE1EiEvPT1_S3_j
		.amdhsa_group_segment_fixed_size 1024
		.amdhsa_private_segment_fixed_size 0
		.amdhsa_kernarg_size 20
		.amdhsa_user_sgpr_count 6
		.amdhsa_user_sgpr_private_segment_buffer 1
		.amdhsa_user_sgpr_dispatch_ptr 0
		.amdhsa_user_sgpr_queue_ptr 0
		.amdhsa_user_sgpr_kernarg_segment_ptr 1
		.amdhsa_user_sgpr_dispatch_id 0
		.amdhsa_user_sgpr_flat_scratch_init 0
		.amdhsa_user_sgpr_private_segment_size 0
		.amdhsa_uses_dynamic_stack 0
		.amdhsa_system_sgpr_private_segment_wavefront_offset 0
		.amdhsa_system_sgpr_workgroup_id_x 1
		.amdhsa_system_sgpr_workgroup_id_y 0
		.amdhsa_system_sgpr_workgroup_id_z 0
		.amdhsa_system_sgpr_workgroup_info 0
		.amdhsa_system_vgpr_workitem_id 0
		.amdhsa_next_free_vgpr 6
		.amdhsa_next_free_sgpr 8
		.amdhsa_reserve_vcc 1
		.amdhsa_reserve_flat_scratch 0
		.amdhsa_float_round_mode_32 0
		.amdhsa_float_round_mode_16_64 0
		.amdhsa_float_denorm_mode_32 3
		.amdhsa_float_denorm_mode_16_64 3
		.amdhsa_dx10_clamp 1
		.amdhsa_ieee_mode 1
		.amdhsa_fp16_overflow 0
		.amdhsa_exception_fp_ieee_invalid_op 0
		.amdhsa_exception_fp_denorm_src 0
		.amdhsa_exception_fp_ieee_div_zero 0
		.amdhsa_exception_fp_ieee_overflow 0
		.amdhsa_exception_fp_ieee_underflow 0
		.amdhsa_exception_fp_ieee_inexact 0
		.amdhsa_exception_int_div_zero 0
	.end_amdhsa_kernel
	.section	.text._Z19reduce_valid_kernelILj256ELN6hipcub20BlockReduceAlgorithmE1EiEvPT1_S3_j,"axG",@progbits,_Z19reduce_valid_kernelILj256ELN6hipcub20BlockReduceAlgorithmE1EiEvPT1_S3_j,comdat
.Lfunc_end61:
	.size	_Z19reduce_valid_kernelILj256ELN6hipcub20BlockReduceAlgorithmE1EiEvPT1_S3_j, .Lfunc_end61-_Z19reduce_valid_kernelILj256ELN6hipcub20BlockReduceAlgorithmE1EiEvPT1_S3_j
                                        ; -- End function
	.set _Z19reduce_valid_kernelILj256ELN6hipcub20BlockReduceAlgorithmE1EiEvPT1_S3_j.num_vgpr, 6
	.set _Z19reduce_valid_kernelILj256ELN6hipcub20BlockReduceAlgorithmE1EiEvPT1_S3_j.num_agpr, 0
	.set _Z19reduce_valid_kernelILj256ELN6hipcub20BlockReduceAlgorithmE1EiEvPT1_S3_j.numbered_sgpr, 8
	.set _Z19reduce_valid_kernelILj256ELN6hipcub20BlockReduceAlgorithmE1EiEvPT1_S3_j.num_named_barrier, 0
	.set _Z19reduce_valid_kernelILj256ELN6hipcub20BlockReduceAlgorithmE1EiEvPT1_S3_j.private_seg_size, 0
	.set _Z19reduce_valid_kernelILj256ELN6hipcub20BlockReduceAlgorithmE1EiEvPT1_S3_j.uses_vcc, 1
	.set _Z19reduce_valid_kernelILj256ELN6hipcub20BlockReduceAlgorithmE1EiEvPT1_S3_j.uses_flat_scratch, 0
	.set _Z19reduce_valid_kernelILj256ELN6hipcub20BlockReduceAlgorithmE1EiEvPT1_S3_j.has_dyn_sized_stack, 0
	.set _Z19reduce_valid_kernelILj256ELN6hipcub20BlockReduceAlgorithmE1EiEvPT1_S3_j.has_recursion, 0
	.set _Z19reduce_valid_kernelILj256ELN6hipcub20BlockReduceAlgorithmE1EiEvPT1_S3_j.has_indirect_call, 0
	.section	.AMDGPU.csdata,"",@progbits
; Kernel info:
; codeLenInByte = 588
; TotalNumSgprs: 12
; NumVgprs: 6
; ScratchSize: 0
; MemoryBound: 0
; FloatMode: 240
; IeeeMode: 1
; LDSByteSize: 1024 bytes/workgroup (compile time only)
; SGPRBlocks: 1
; VGPRBlocks: 1
; NumSGPRsForWavesPerEU: 12
; NumVGPRsForWavesPerEU: 6
; Occupancy: 10
; WaveLimiterHint : 0
; COMPUTE_PGM_RSRC2:SCRATCH_EN: 0
; COMPUTE_PGM_RSRC2:USER_SGPR: 6
; COMPUTE_PGM_RSRC2:TRAP_HANDLER: 0
; COMPUTE_PGM_RSRC2:TGID_X_EN: 1
; COMPUTE_PGM_RSRC2:TGID_Y_EN: 0
; COMPUTE_PGM_RSRC2:TGID_Z_EN: 0
; COMPUTE_PGM_RSRC2:TIDIG_COMP_CNT: 0
	.section	.text._Z19reduce_valid_kernelILj192ELN6hipcub20BlockReduceAlgorithmE1EiEvPT1_S3_j,"axG",@progbits,_Z19reduce_valid_kernelILj192ELN6hipcub20BlockReduceAlgorithmE1EiEvPT1_S3_j,comdat
	.protected	_Z19reduce_valid_kernelILj192ELN6hipcub20BlockReduceAlgorithmE1EiEvPT1_S3_j ; -- Begin function _Z19reduce_valid_kernelILj192ELN6hipcub20BlockReduceAlgorithmE1EiEvPT1_S3_j
	.globl	_Z19reduce_valid_kernelILj192ELN6hipcub20BlockReduceAlgorithmE1EiEvPT1_S3_j
	.p2align	8
	.type	_Z19reduce_valid_kernelILj192ELN6hipcub20BlockReduceAlgorithmE1EiEvPT1_S3_j,@function
_Z19reduce_valid_kernelILj192ELN6hipcub20BlockReduceAlgorithmE1EiEvPT1_S3_j: ; @_Z19reduce_valid_kernelILj192ELN6hipcub20BlockReduceAlgorithmE1EiEvPT1_S3_j
; %bb.0:
	s_load_dwordx4 s[0:3], s[4:5], 0x0
	s_load_dword s7, s[4:5], 0x10
	s_mul_i32 s4, s6, 0xc0
	v_add_u32_e32 v1, s4, v0
	v_mov_b32_e32 v2, 0
	v_lshlrev_b64 v[1:2], 2, v[1:2]
	s_waitcnt lgkmcnt(0)
	v_mov_b32_e32 v3, s1
	v_add_co_u32_e32 v1, vcc, s0, v1
	v_addc_co_u32_e32 v2, vcc, v3, v2, vcc
	global_load_dword v1, v[1:2], off
	v_cmp_gt_u32_e32 vcc, s7, v0
	s_and_saveexec_b64 s[0:1], vcc
	s_cbranch_execz .LBB62_2
; %bb.1:
	v_lshlrev_b32_e32 v2, 2, v0
	s_waitcnt vmcnt(0)
	ds_write_b32 v2, v1
.LBB62_2:
	s_or_b64 exec, exec, s[0:1]
	v_mul_u32_u24_e32 v2, 3, v0
	v_cmp_gt_u32_e32 vcc, s7, v2
	s_waitcnt vmcnt(0) lgkmcnt(0)
	s_barrier
	s_and_saveexec_b64 s[0:1], vcc
	s_cbranch_execz .LBB62_8
; %bb.3:
	v_lshlrev_b32_e32 v3, 2, v2
	ds_read_b32 v1, v3
	v_add_u32_e32 v4, 1, v2
	v_cmp_gt_u32_e32 vcc, s7, v4
	s_and_saveexec_b64 s[4:5], vcc
	s_cbranch_execz .LBB62_5
; %bb.4:
	ds_read_b32 v4, v3 offset:4
	s_waitcnt lgkmcnt(0)
	v_add_u32_e32 v1, v4, v1
.LBB62_5:
	s_or_b64 exec, exec, s[4:5]
	v_add_u32_e32 v2, 2, v2
	v_cmp_gt_u32_e32 vcc, s7, v2
	s_and_saveexec_b64 s[4:5], vcc
	s_cbranch_execz .LBB62_7
; %bb.6:
	ds_read_b32 v2, v3 offset:8
	s_waitcnt lgkmcnt(0)
	v_add_u32_e32 v1, v2, v1
.LBB62_7:
	s_or_b64 exec, exec, s[4:5]
	v_mbcnt_lo_u32_b32 v2, -1, 0
	v_mbcnt_hi_u32_b32 v2, -1, v2
	v_and_b32_e32 v3, 63, v2
	v_cmp_ne_u32_e32 vcc, 63, v3
	v_addc_co_u32_e32 v4, vcc, 0, v2, vcc
	v_lshlrev_b32_e32 v4, 2, v4
	s_waitcnt lgkmcnt(0)
	ds_bpermute_b32 v4, v4, v1
	s_add_i32 s7, s7, 2
	s_mul_hi_u32 s4, s7, 0xaaaaaaab
	s_lshr_b32 s4, s4, 1
	v_add_u32_e32 v5, 1, v2
	v_cmp_gt_u32_e32 vcc, s4, v5
	s_waitcnt lgkmcnt(0)
	v_cndmask_b32_e32 v4, 0, v4, vcc
	v_cmp_gt_u32_e32 vcc, 62, v3
	v_add_u32_e32 v1, v4, v1
	v_cndmask_b32_e64 v4, 0, 2, vcc
	v_add_lshl_u32 v4, v4, v2, 2
	ds_bpermute_b32 v4, v4, v1
	v_add_u32_e32 v5, 2, v2
	v_cmp_gt_u32_e32 vcc, s4, v5
	v_add_u32_e32 v5, 4, v2
	s_waitcnt lgkmcnt(0)
	v_cndmask_b32_e32 v4, 0, v4, vcc
	v_cmp_gt_u32_e32 vcc, 60, v3
	v_add_u32_e32 v1, v1, v4
	v_cndmask_b32_e64 v4, 0, 4, vcc
	v_add_lshl_u32 v4, v4, v2, 2
	ds_bpermute_b32 v4, v4, v1
	v_cmp_gt_u32_e32 vcc, s4, v5
	v_add_u32_e32 v5, 8, v2
	s_waitcnt lgkmcnt(0)
	v_cndmask_b32_e32 v4, 0, v4, vcc
	v_cmp_gt_u32_e32 vcc, 56, v3
	v_add_u32_e32 v1, v1, v4
	v_cndmask_b32_e64 v4, 0, 8, vcc
	v_add_lshl_u32 v4, v4, v2, 2
	ds_bpermute_b32 v4, v4, v1
	v_cmp_gt_u32_e32 vcc, s4, v5
	s_waitcnt lgkmcnt(0)
	v_cndmask_b32_e32 v4, 0, v4, vcc
	v_cmp_gt_u32_e32 vcc, 48, v3
	v_cndmask_b32_e64 v3, 0, 16, vcc
	v_add_u32_e32 v1, v1, v4
	v_add_lshl_u32 v3, v3, v2, 2
	ds_bpermute_b32 v3, v3, v1
	v_add_u32_e32 v4, 16, v2
	v_cmp_gt_u32_e32 vcc, s4, v4
	s_waitcnt lgkmcnt(0)
	v_cndmask_b32_e32 v3, 0, v3, vcc
	v_add_u32_e32 v1, v1, v3
	v_mov_b32_e32 v3, 0x80
	v_lshl_or_b32 v3, v2, 2, v3
	ds_bpermute_b32 v3, v3, v1
	v_add_u32_e32 v2, 32, v2
	v_cmp_gt_u32_e32 vcc, s4, v2
	s_waitcnt lgkmcnt(0)
	v_cndmask_b32_e32 v2, 0, v3, vcc
	v_add_u32_e32 v1, v1, v2
.LBB62_8:
	s_or_b64 exec, exec, s[0:1]
	s_mov_b32 s7, 0
	v_cmp_eq_u32_e32 vcc, 0, v0
	s_and_saveexec_b64 s[0:1], vcc
	s_cbranch_execz .LBB62_10
; %bb.9:
	s_lshl_b64 s[0:1], s[6:7], 2
	s_add_u32 s0, s2, s0
	s_addc_u32 s1, s3, s1
	v_mov_b32_e32 v0, 0
	global_store_dword v0, v1, s[0:1]
.LBB62_10:
	s_endpgm
	.section	.rodata,"a",@progbits
	.p2align	6, 0x0
	.amdhsa_kernel _Z19reduce_valid_kernelILj192ELN6hipcub20BlockReduceAlgorithmE1EiEvPT1_S3_j
		.amdhsa_group_segment_fixed_size 768
		.amdhsa_private_segment_fixed_size 0
		.amdhsa_kernarg_size 20
		.amdhsa_user_sgpr_count 6
		.amdhsa_user_sgpr_private_segment_buffer 1
		.amdhsa_user_sgpr_dispatch_ptr 0
		.amdhsa_user_sgpr_queue_ptr 0
		.amdhsa_user_sgpr_kernarg_segment_ptr 1
		.amdhsa_user_sgpr_dispatch_id 0
		.amdhsa_user_sgpr_flat_scratch_init 0
		.amdhsa_user_sgpr_private_segment_size 0
		.amdhsa_uses_dynamic_stack 0
		.amdhsa_system_sgpr_private_segment_wavefront_offset 0
		.amdhsa_system_sgpr_workgroup_id_x 1
		.amdhsa_system_sgpr_workgroup_id_y 0
		.amdhsa_system_sgpr_workgroup_id_z 0
		.amdhsa_system_sgpr_workgroup_info 0
		.amdhsa_system_vgpr_workitem_id 0
		.amdhsa_next_free_vgpr 6
		.amdhsa_next_free_sgpr 8
		.amdhsa_reserve_vcc 1
		.amdhsa_reserve_flat_scratch 0
		.amdhsa_float_round_mode_32 0
		.amdhsa_float_round_mode_16_64 0
		.amdhsa_float_denorm_mode_32 3
		.amdhsa_float_denorm_mode_16_64 3
		.amdhsa_dx10_clamp 1
		.amdhsa_ieee_mode 1
		.amdhsa_fp16_overflow 0
		.amdhsa_exception_fp_ieee_invalid_op 0
		.amdhsa_exception_fp_denorm_src 0
		.amdhsa_exception_fp_ieee_div_zero 0
		.amdhsa_exception_fp_ieee_overflow 0
		.amdhsa_exception_fp_ieee_underflow 0
		.amdhsa_exception_fp_ieee_inexact 0
		.amdhsa_exception_int_div_zero 0
	.end_amdhsa_kernel
	.section	.text._Z19reduce_valid_kernelILj192ELN6hipcub20BlockReduceAlgorithmE1EiEvPT1_S3_j,"axG",@progbits,_Z19reduce_valid_kernelILj192ELN6hipcub20BlockReduceAlgorithmE1EiEvPT1_S3_j,comdat
.Lfunc_end62:
	.size	_Z19reduce_valid_kernelILj192ELN6hipcub20BlockReduceAlgorithmE1EiEvPT1_S3_j, .Lfunc_end62-_Z19reduce_valid_kernelILj192ELN6hipcub20BlockReduceAlgorithmE1EiEvPT1_S3_j
                                        ; -- End function
	.set _Z19reduce_valid_kernelILj192ELN6hipcub20BlockReduceAlgorithmE1EiEvPT1_S3_j.num_vgpr, 6
	.set _Z19reduce_valid_kernelILj192ELN6hipcub20BlockReduceAlgorithmE1EiEvPT1_S3_j.num_agpr, 0
	.set _Z19reduce_valid_kernelILj192ELN6hipcub20BlockReduceAlgorithmE1EiEvPT1_S3_j.numbered_sgpr, 8
	.set _Z19reduce_valid_kernelILj192ELN6hipcub20BlockReduceAlgorithmE1EiEvPT1_S3_j.num_named_barrier, 0
	.set _Z19reduce_valid_kernelILj192ELN6hipcub20BlockReduceAlgorithmE1EiEvPT1_S3_j.private_seg_size, 0
	.set _Z19reduce_valid_kernelILj192ELN6hipcub20BlockReduceAlgorithmE1EiEvPT1_S3_j.uses_vcc, 1
	.set _Z19reduce_valid_kernelILj192ELN6hipcub20BlockReduceAlgorithmE1EiEvPT1_S3_j.uses_flat_scratch, 0
	.set _Z19reduce_valid_kernelILj192ELN6hipcub20BlockReduceAlgorithmE1EiEvPT1_S3_j.has_dyn_sized_stack, 0
	.set _Z19reduce_valid_kernelILj192ELN6hipcub20BlockReduceAlgorithmE1EiEvPT1_S3_j.has_recursion, 0
	.set _Z19reduce_valid_kernelILj192ELN6hipcub20BlockReduceAlgorithmE1EiEvPT1_S3_j.has_indirect_call, 0
	.section	.AMDGPU.csdata,"",@progbits
; Kernel info:
; codeLenInByte = 568
; TotalNumSgprs: 12
; NumVgprs: 6
; ScratchSize: 0
; MemoryBound: 0
; FloatMode: 240
; IeeeMode: 1
; LDSByteSize: 768 bytes/workgroup (compile time only)
; SGPRBlocks: 1
; VGPRBlocks: 1
; NumSGPRsForWavesPerEU: 12
; NumVGPRsForWavesPerEU: 6
; Occupancy: 10
; WaveLimiterHint : 0
; COMPUTE_PGM_RSRC2:SCRATCH_EN: 0
; COMPUTE_PGM_RSRC2:USER_SGPR: 6
; COMPUTE_PGM_RSRC2:TRAP_HANDLER: 0
; COMPUTE_PGM_RSRC2:TGID_X_EN: 1
; COMPUTE_PGM_RSRC2:TGID_Y_EN: 0
; COMPUTE_PGM_RSRC2:TGID_Z_EN: 0
; COMPUTE_PGM_RSRC2:TIDIG_COMP_CNT: 0
	.section	.text._Z19reduce_valid_kernelILj128ELN6hipcub20BlockReduceAlgorithmE1EiEvPT1_S3_j,"axG",@progbits,_Z19reduce_valid_kernelILj128ELN6hipcub20BlockReduceAlgorithmE1EiEvPT1_S3_j,comdat
	.protected	_Z19reduce_valid_kernelILj128ELN6hipcub20BlockReduceAlgorithmE1EiEvPT1_S3_j ; -- Begin function _Z19reduce_valid_kernelILj128ELN6hipcub20BlockReduceAlgorithmE1EiEvPT1_S3_j
	.globl	_Z19reduce_valid_kernelILj128ELN6hipcub20BlockReduceAlgorithmE1EiEvPT1_S3_j
	.p2align	8
	.type	_Z19reduce_valid_kernelILj128ELN6hipcub20BlockReduceAlgorithmE1EiEvPT1_S3_j,@function
_Z19reduce_valid_kernelILj128ELN6hipcub20BlockReduceAlgorithmE1EiEvPT1_S3_j: ; @_Z19reduce_valid_kernelILj128ELN6hipcub20BlockReduceAlgorithmE1EiEvPT1_S3_j
; %bb.0:
	s_load_dwordx4 s[0:3], s[4:5], 0x0
	s_load_dword s7, s[4:5], 0x10
	v_lshl_or_b32 v1, s6, 7, v0
	v_mov_b32_e32 v2, 0
	v_lshlrev_b64 v[1:2], 2, v[1:2]
	s_waitcnt lgkmcnt(0)
	v_mov_b32_e32 v3, s1
	v_add_co_u32_e32 v1, vcc, s0, v1
	v_addc_co_u32_e32 v2, vcc, v3, v2, vcc
	global_load_dword v1, v[1:2], off
	v_cmp_gt_u32_e32 vcc, s7, v0
	s_and_saveexec_b64 s[0:1], vcc
	s_cbranch_execz .LBB63_2
; %bb.1:
	v_lshlrev_b32_e32 v2, 2, v0
	s_waitcnt vmcnt(0)
	ds_write_b32 v2, v1
.LBB63_2:
	s_or_b64 exec, exec, s[0:1]
	v_lshlrev_b32_e32 v2, 1, v0
	v_cmp_gt_u32_e32 vcc, s7, v2
	s_waitcnt vmcnt(0) lgkmcnt(0)
	s_barrier
	s_and_saveexec_b64 s[0:1], vcc
	s_cbranch_execz .LBB63_6
; %bb.3:
	v_lshlrev_b32_e32 v3, 2, v2
	ds_read_b32 v1, v3
	v_or_b32_e32 v2, 1, v2
	v_cmp_gt_u32_e32 vcc, s7, v2
	s_and_saveexec_b64 s[4:5], vcc
	s_cbranch_execz .LBB63_5
; %bb.4:
	ds_read_b32 v2, v3 offset:4
	s_waitcnt lgkmcnt(0)
	v_add_u32_e32 v1, v2, v1
.LBB63_5:
	s_or_b64 exec, exec, s[4:5]
	v_mbcnt_lo_u32_b32 v2, -1, 0
	v_mbcnt_hi_u32_b32 v2, -1, v2
	v_and_b32_e32 v3, 63, v2
	v_cmp_ne_u32_e32 vcc, 63, v3
	v_addc_co_u32_e32 v4, vcc, 0, v2, vcc
	v_lshlrev_b32_e32 v4, 2, v4
	s_waitcnt lgkmcnt(0)
	ds_bpermute_b32 v4, v4, v1
	s_add_i32 s7, s7, 1
	s_lshr_b32 s4, s7, 1
	v_add_u32_e32 v5, 1, v2
	v_cmp_gt_u32_e32 vcc, s4, v5
	s_waitcnt lgkmcnt(0)
	v_cndmask_b32_e32 v4, 0, v4, vcc
	v_cmp_gt_u32_e32 vcc, 62, v3
	v_add_u32_e32 v1, v4, v1
	v_cndmask_b32_e64 v4, 0, 2, vcc
	v_add_lshl_u32 v4, v4, v2, 2
	ds_bpermute_b32 v4, v4, v1
	v_add_u32_e32 v5, 2, v2
	v_cmp_gt_u32_e32 vcc, s4, v5
	v_add_u32_e32 v5, 4, v2
	s_waitcnt lgkmcnt(0)
	v_cndmask_b32_e32 v4, 0, v4, vcc
	v_cmp_gt_u32_e32 vcc, 60, v3
	v_add_u32_e32 v1, v1, v4
	v_cndmask_b32_e64 v4, 0, 4, vcc
	v_add_lshl_u32 v4, v4, v2, 2
	ds_bpermute_b32 v4, v4, v1
	v_cmp_gt_u32_e32 vcc, s4, v5
	v_add_u32_e32 v5, 8, v2
	s_waitcnt lgkmcnt(0)
	v_cndmask_b32_e32 v4, 0, v4, vcc
	v_cmp_gt_u32_e32 vcc, 56, v3
	v_add_u32_e32 v1, v1, v4
	v_cndmask_b32_e64 v4, 0, 8, vcc
	v_add_lshl_u32 v4, v4, v2, 2
	ds_bpermute_b32 v4, v4, v1
	v_cmp_gt_u32_e32 vcc, s4, v5
	s_waitcnt lgkmcnt(0)
	v_cndmask_b32_e32 v4, 0, v4, vcc
	v_cmp_gt_u32_e32 vcc, 48, v3
	v_cndmask_b32_e64 v3, 0, 16, vcc
	v_add_u32_e32 v1, v1, v4
	v_add_lshl_u32 v3, v3, v2, 2
	ds_bpermute_b32 v3, v3, v1
	v_add_u32_e32 v4, 16, v2
	v_cmp_gt_u32_e32 vcc, s4, v4
	s_waitcnt lgkmcnt(0)
	v_cndmask_b32_e32 v3, 0, v3, vcc
	v_add_u32_e32 v1, v1, v3
	v_mov_b32_e32 v3, 0x80
	v_lshl_or_b32 v3, v2, 2, v3
	ds_bpermute_b32 v3, v3, v1
	v_add_u32_e32 v2, 32, v2
	v_cmp_gt_u32_e32 vcc, s4, v2
	s_waitcnt lgkmcnt(0)
	v_cndmask_b32_e32 v2, 0, v3, vcc
	v_add_u32_e32 v1, v1, v2
.LBB63_6:
	s_or_b64 exec, exec, s[0:1]
	s_mov_b32 s7, 0
	v_cmp_eq_u32_e32 vcc, 0, v0
	s_and_saveexec_b64 s[0:1], vcc
	s_cbranch_execz .LBB63_8
; %bb.7:
	s_lshl_b64 s[0:1], s[6:7], 2
	s_add_u32 s0, s2, s0
	s_addc_u32 s1, s3, s1
	v_mov_b32_e32 v0, 0
	global_store_dword v0, v1, s[0:1]
.LBB63_8:
	s_endpgm
	.section	.rodata,"a",@progbits
	.p2align	6, 0x0
	.amdhsa_kernel _Z19reduce_valid_kernelILj128ELN6hipcub20BlockReduceAlgorithmE1EiEvPT1_S3_j
		.amdhsa_group_segment_fixed_size 512
		.amdhsa_private_segment_fixed_size 0
		.amdhsa_kernarg_size 20
		.amdhsa_user_sgpr_count 6
		.amdhsa_user_sgpr_private_segment_buffer 1
		.amdhsa_user_sgpr_dispatch_ptr 0
		.amdhsa_user_sgpr_queue_ptr 0
		.amdhsa_user_sgpr_kernarg_segment_ptr 1
		.amdhsa_user_sgpr_dispatch_id 0
		.amdhsa_user_sgpr_flat_scratch_init 0
		.amdhsa_user_sgpr_private_segment_size 0
		.amdhsa_uses_dynamic_stack 0
		.amdhsa_system_sgpr_private_segment_wavefront_offset 0
		.amdhsa_system_sgpr_workgroup_id_x 1
		.amdhsa_system_sgpr_workgroup_id_y 0
		.amdhsa_system_sgpr_workgroup_id_z 0
		.amdhsa_system_sgpr_workgroup_info 0
		.amdhsa_system_vgpr_workitem_id 0
		.amdhsa_next_free_vgpr 6
		.amdhsa_next_free_sgpr 8
		.amdhsa_reserve_vcc 1
		.amdhsa_reserve_flat_scratch 0
		.amdhsa_float_round_mode_32 0
		.amdhsa_float_round_mode_16_64 0
		.amdhsa_float_denorm_mode_32 3
		.amdhsa_float_denorm_mode_16_64 3
		.amdhsa_dx10_clamp 1
		.amdhsa_ieee_mode 1
		.amdhsa_fp16_overflow 0
		.amdhsa_exception_fp_ieee_invalid_op 0
		.amdhsa_exception_fp_denorm_src 0
		.amdhsa_exception_fp_ieee_div_zero 0
		.amdhsa_exception_fp_ieee_overflow 0
		.amdhsa_exception_fp_ieee_underflow 0
		.amdhsa_exception_fp_ieee_inexact 0
		.amdhsa_exception_int_div_zero 0
	.end_amdhsa_kernel
	.section	.text._Z19reduce_valid_kernelILj128ELN6hipcub20BlockReduceAlgorithmE1EiEvPT1_S3_j,"axG",@progbits,_Z19reduce_valid_kernelILj128ELN6hipcub20BlockReduceAlgorithmE1EiEvPT1_S3_j,comdat
.Lfunc_end63:
	.size	_Z19reduce_valid_kernelILj128ELN6hipcub20BlockReduceAlgorithmE1EiEvPT1_S3_j, .Lfunc_end63-_Z19reduce_valid_kernelILj128ELN6hipcub20BlockReduceAlgorithmE1EiEvPT1_S3_j
                                        ; -- End function
	.set _Z19reduce_valid_kernelILj128ELN6hipcub20BlockReduceAlgorithmE1EiEvPT1_S3_j.num_vgpr, 6
	.set _Z19reduce_valid_kernelILj128ELN6hipcub20BlockReduceAlgorithmE1EiEvPT1_S3_j.num_agpr, 0
	.set _Z19reduce_valid_kernelILj128ELN6hipcub20BlockReduceAlgorithmE1EiEvPT1_S3_j.numbered_sgpr, 8
	.set _Z19reduce_valid_kernelILj128ELN6hipcub20BlockReduceAlgorithmE1EiEvPT1_S3_j.num_named_barrier, 0
	.set _Z19reduce_valid_kernelILj128ELN6hipcub20BlockReduceAlgorithmE1EiEvPT1_S3_j.private_seg_size, 0
	.set _Z19reduce_valid_kernelILj128ELN6hipcub20BlockReduceAlgorithmE1EiEvPT1_S3_j.uses_vcc, 1
	.set _Z19reduce_valid_kernelILj128ELN6hipcub20BlockReduceAlgorithmE1EiEvPT1_S3_j.uses_flat_scratch, 0
	.set _Z19reduce_valid_kernelILj128ELN6hipcub20BlockReduceAlgorithmE1EiEvPT1_S3_j.has_dyn_sized_stack, 0
	.set _Z19reduce_valid_kernelILj128ELN6hipcub20BlockReduceAlgorithmE1EiEvPT1_S3_j.has_recursion, 0
	.set _Z19reduce_valid_kernelILj128ELN6hipcub20BlockReduceAlgorithmE1EiEvPT1_S3_j.has_indirect_call, 0
	.section	.AMDGPU.csdata,"",@progbits
; Kernel info:
; codeLenInByte = 520
; TotalNumSgprs: 12
; NumVgprs: 6
; ScratchSize: 0
; MemoryBound: 0
; FloatMode: 240
; IeeeMode: 1
; LDSByteSize: 512 bytes/workgroup (compile time only)
; SGPRBlocks: 1
; VGPRBlocks: 1
; NumSGPRsForWavesPerEU: 12
; NumVGPRsForWavesPerEU: 6
; Occupancy: 10
; WaveLimiterHint : 0
; COMPUTE_PGM_RSRC2:SCRATCH_EN: 0
; COMPUTE_PGM_RSRC2:USER_SGPR: 6
; COMPUTE_PGM_RSRC2:TRAP_HANDLER: 0
; COMPUTE_PGM_RSRC2:TGID_X_EN: 1
; COMPUTE_PGM_RSRC2:TGID_Y_EN: 0
; COMPUTE_PGM_RSRC2:TGID_Z_EN: 0
; COMPUTE_PGM_RSRC2:TIDIG_COMP_CNT: 0
	.section	.text._Z19reduce_valid_kernelILj64ELN6hipcub20BlockReduceAlgorithmE1EiEvPT1_S3_j,"axG",@progbits,_Z19reduce_valid_kernelILj64ELN6hipcub20BlockReduceAlgorithmE1EiEvPT1_S3_j,comdat
	.protected	_Z19reduce_valid_kernelILj64ELN6hipcub20BlockReduceAlgorithmE1EiEvPT1_S3_j ; -- Begin function _Z19reduce_valid_kernelILj64ELN6hipcub20BlockReduceAlgorithmE1EiEvPT1_S3_j
	.globl	_Z19reduce_valid_kernelILj64ELN6hipcub20BlockReduceAlgorithmE1EiEvPT1_S3_j
	.p2align	8
	.type	_Z19reduce_valid_kernelILj64ELN6hipcub20BlockReduceAlgorithmE1EiEvPT1_S3_j,@function
_Z19reduce_valid_kernelILj64ELN6hipcub20BlockReduceAlgorithmE1EiEvPT1_S3_j: ; @_Z19reduce_valid_kernelILj64ELN6hipcub20BlockReduceAlgorithmE1EiEvPT1_S3_j
; %bb.0:
	s_load_dwordx4 s[0:3], s[4:5], 0x0
	s_load_dword s7, s[4:5], 0x10
	v_lshl_or_b32 v1, s6, 6, v0
	v_mov_b32_e32 v2, 0
	v_lshlrev_b64 v[1:2], 2, v[1:2]
	s_waitcnt lgkmcnt(0)
	v_mov_b32_e32 v3, s1
	v_add_co_u32_e32 v1, vcc, s0, v1
	v_addc_co_u32_e32 v2, vcc, v3, v2, vcc
	global_load_dword v1, v[1:2], off
	v_cmp_gt_u32_e32 vcc, s7, v0
	v_lshlrev_b32_e32 v2, 2, v0
	s_and_saveexec_b64 s[0:1], vcc
	s_cbranch_execz .LBB64_2
; %bb.1:
	s_waitcnt vmcnt(0)
	ds_write_b32 v2, v1
.LBB64_2:
	s_or_b64 exec, exec, s[0:1]
	s_waitcnt lgkmcnt(0)
	; wave barrier
	s_and_saveexec_b64 s[0:1], vcc
	s_cbranch_execz .LBB64_4
; %bb.3:
	s_waitcnt vmcnt(0)
	ds_read_b32 v1, v2
	v_mbcnt_lo_u32_b32 v2, -1, 0
	v_mbcnt_hi_u32_b32 v2, -1, v2
	v_and_b32_e32 v3, 63, v2
	v_cmp_ne_u32_e32 vcc, 63, v3
	v_addc_co_u32_e32 v4, vcc, 0, v2, vcc
	v_lshlrev_b32_e32 v4, 2, v4
	s_waitcnt lgkmcnt(0)
	ds_bpermute_b32 v4, v4, v1
	v_add_u32_e32 v5, 1, v2
	v_cmp_gt_u32_e32 vcc, s7, v5
	v_add_u32_e32 v5, 2, v2
	s_waitcnt lgkmcnt(0)
	v_cndmask_b32_e32 v4, 0, v4, vcc
	v_cmp_gt_u32_e32 vcc, 62, v3
	v_add_u32_e32 v1, v4, v1
	v_cndmask_b32_e64 v4, 0, 2, vcc
	v_add_lshl_u32 v4, v4, v2, 2
	ds_bpermute_b32 v4, v4, v1
	v_cmp_gt_u32_e32 vcc, s7, v5
	v_add_u32_e32 v5, 4, v2
	s_waitcnt lgkmcnt(0)
	v_cndmask_b32_e32 v4, 0, v4, vcc
	v_cmp_gt_u32_e32 vcc, 60, v3
	v_add_u32_e32 v1, v1, v4
	v_cndmask_b32_e64 v4, 0, 4, vcc
	v_add_lshl_u32 v4, v4, v2, 2
	ds_bpermute_b32 v4, v4, v1
	;; [unrolled: 9-line block ×3, first 2 shown]
	v_cmp_gt_u32_e32 vcc, s7, v5
	s_waitcnt lgkmcnt(0)
	v_cndmask_b32_e32 v4, 0, v4, vcc
	v_cmp_gt_u32_e32 vcc, 48, v3
	v_cndmask_b32_e64 v3, 0, 16, vcc
	v_add_u32_e32 v1, v1, v4
	v_add_lshl_u32 v3, v3, v2, 2
	ds_bpermute_b32 v3, v3, v1
	v_add_u32_e32 v4, 16, v2
	v_cmp_gt_u32_e32 vcc, s7, v4
	s_waitcnt lgkmcnt(0)
	v_cndmask_b32_e32 v3, 0, v3, vcc
	v_add_u32_e32 v1, v1, v3
	v_mov_b32_e32 v3, 0x80
	v_lshl_or_b32 v3, v2, 2, v3
	ds_bpermute_b32 v3, v3, v1
	v_add_u32_e32 v2, 32, v2
	v_cmp_gt_u32_e32 vcc, s7, v2
	s_waitcnt lgkmcnt(0)
	v_cndmask_b32_e32 v2, 0, v3, vcc
	v_add_u32_e32 v1, v1, v2
.LBB64_4:
	s_or_b64 exec, exec, s[0:1]
	s_mov_b32 s7, 0
	v_cmp_eq_u32_e32 vcc, 0, v0
	s_and_saveexec_b64 s[0:1], vcc
	s_cbranch_execz .LBB64_6
; %bb.5:
	s_lshl_b64 s[0:1], s[6:7], 2
	s_add_u32 s0, s2, s0
	s_addc_u32 s1, s3, s1
	v_mov_b32_e32 v0, 0
	s_waitcnt vmcnt(0)
	global_store_dword v0, v1, s[0:1]
.LBB64_6:
	s_endpgm
	.section	.rodata,"a",@progbits
	.p2align	6, 0x0
	.amdhsa_kernel _Z19reduce_valid_kernelILj64ELN6hipcub20BlockReduceAlgorithmE1EiEvPT1_S3_j
		.amdhsa_group_segment_fixed_size 256
		.amdhsa_private_segment_fixed_size 0
		.amdhsa_kernarg_size 20
		.amdhsa_user_sgpr_count 6
		.amdhsa_user_sgpr_private_segment_buffer 1
		.amdhsa_user_sgpr_dispatch_ptr 0
		.amdhsa_user_sgpr_queue_ptr 0
		.amdhsa_user_sgpr_kernarg_segment_ptr 1
		.amdhsa_user_sgpr_dispatch_id 0
		.amdhsa_user_sgpr_flat_scratch_init 0
		.amdhsa_user_sgpr_private_segment_size 0
		.amdhsa_uses_dynamic_stack 0
		.amdhsa_system_sgpr_private_segment_wavefront_offset 0
		.amdhsa_system_sgpr_workgroup_id_x 1
		.amdhsa_system_sgpr_workgroup_id_y 0
		.amdhsa_system_sgpr_workgroup_id_z 0
		.amdhsa_system_sgpr_workgroup_info 0
		.amdhsa_system_vgpr_workitem_id 0
		.amdhsa_next_free_vgpr 6
		.amdhsa_next_free_sgpr 8
		.amdhsa_reserve_vcc 1
		.amdhsa_reserve_flat_scratch 0
		.amdhsa_float_round_mode_32 0
		.amdhsa_float_round_mode_16_64 0
		.amdhsa_float_denorm_mode_32 3
		.amdhsa_float_denorm_mode_16_64 3
		.amdhsa_dx10_clamp 1
		.amdhsa_ieee_mode 1
		.amdhsa_fp16_overflow 0
		.amdhsa_exception_fp_ieee_invalid_op 0
		.amdhsa_exception_fp_denorm_src 0
		.amdhsa_exception_fp_ieee_div_zero 0
		.amdhsa_exception_fp_ieee_overflow 0
		.amdhsa_exception_fp_ieee_underflow 0
		.amdhsa_exception_fp_ieee_inexact 0
		.amdhsa_exception_int_div_zero 0
	.end_amdhsa_kernel
	.section	.text._Z19reduce_valid_kernelILj64ELN6hipcub20BlockReduceAlgorithmE1EiEvPT1_S3_j,"axG",@progbits,_Z19reduce_valid_kernelILj64ELN6hipcub20BlockReduceAlgorithmE1EiEvPT1_S3_j,comdat
.Lfunc_end64:
	.size	_Z19reduce_valid_kernelILj64ELN6hipcub20BlockReduceAlgorithmE1EiEvPT1_S3_j, .Lfunc_end64-_Z19reduce_valid_kernelILj64ELN6hipcub20BlockReduceAlgorithmE1EiEvPT1_S3_j
                                        ; -- End function
	.set _Z19reduce_valid_kernelILj64ELN6hipcub20BlockReduceAlgorithmE1EiEvPT1_S3_j.num_vgpr, 6
	.set _Z19reduce_valid_kernelILj64ELN6hipcub20BlockReduceAlgorithmE1EiEvPT1_S3_j.num_agpr, 0
	.set _Z19reduce_valid_kernelILj64ELN6hipcub20BlockReduceAlgorithmE1EiEvPT1_S3_j.numbered_sgpr, 8
	.set _Z19reduce_valid_kernelILj64ELN6hipcub20BlockReduceAlgorithmE1EiEvPT1_S3_j.num_named_barrier, 0
	.set _Z19reduce_valid_kernelILj64ELN6hipcub20BlockReduceAlgorithmE1EiEvPT1_S3_j.private_seg_size, 0
	.set _Z19reduce_valid_kernelILj64ELN6hipcub20BlockReduceAlgorithmE1EiEvPT1_S3_j.uses_vcc, 1
	.set _Z19reduce_valid_kernelILj64ELN6hipcub20BlockReduceAlgorithmE1EiEvPT1_S3_j.uses_flat_scratch, 0
	.set _Z19reduce_valid_kernelILj64ELN6hipcub20BlockReduceAlgorithmE1EiEvPT1_S3_j.has_dyn_sized_stack, 0
	.set _Z19reduce_valid_kernelILj64ELN6hipcub20BlockReduceAlgorithmE1EiEvPT1_S3_j.has_recursion, 0
	.set _Z19reduce_valid_kernelILj64ELN6hipcub20BlockReduceAlgorithmE1EiEvPT1_S3_j.has_indirect_call, 0
	.section	.AMDGPU.csdata,"",@progbits
; Kernel info:
; codeLenInByte = 468
; TotalNumSgprs: 12
; NumVgprs: 6
; ScratchSize: 0
; MemoryBound: 0
; FloatMode: 240
; IeeeMode: 1
; LDSByteSize: 256 bytes/workgroup (compile time only)
; SGPRBlocks: 1
; VGPRBlocks: 1
; NumSGPRsForWavesPerEU: 12
; NumVGPRsForWavesPerEU: 6
; Occupancy: 10
; WaveLimiterHint : 0
; COMPUTE_PGM_RSRC2:SCRATCH_EN: 0
; COMPUTE_PGM_RSRC2:USER_SGPR: 6
; COMPUTE_PGM_RSRC2:TRAP_HANDLER: 0
; COMPUTE_PGM_RSRC2:TGID_X_EN: 1
; COMPUTE_PGM_RSRC2:TGID_Y_EN: 0
; COMPUTE_PGM_RSRC2:TGID_Z_EN: 0
; COMPUTE_PGM_RSRC2:TIDIG_COMP_CNT: 0
	.section	.text._Z19reduce_valid_kernelILj377ELN6hipcub20BlockReduceAlgorithmE0ElEvPT1_S3_j,"axG",@progbits,_Z19reduce_valid_kernelILj377ELN6hipcub20BlockReduceAlgorithmE0ElEvPT1_S3_j,comdat
	.protected	_Z19reduce_valid_kernelILj377ELN6hipcub20BlockReduceAlgorithmE0ElEvPT1_S3_j ; -- Begin function _Z19reduce_valid_kernelILj377ELN6hipcub20BlockReduceAlgorithmE0ElEvPT1_S3_j
	.globl	_Z19reduce_valid_kernelILj377ELN6hipcub20BlockReduceAlgorithmE0ElEvPT1_S3_j
	.p2align	8
	.type	_Z19reduce_valid_kernelILj377ELN6hipcub20BlockReduceAlgorithmE0ElEvPT1_S3_j,@function
_Z19reduce_valid_kernelILj377ELN6hipcub20BlockReduceAlgorithmE0ElEvPT1_S3_j: ; @_Z19reduce_valid_kernelILj377ELN6hipcub20BlockReduceAlgorithmE0ElEvPT1_S3_j
; %bb.0:
	s_load_dwordx4 s[0:3], s[4:5], 0x0
	s_load_dword s7, s[4:5], 0x10
	s_mul_i32 s4, s6, 0x179
	v_add_u32_e32 v1, s4, v0
	v_mov_b32_e32 v2, 0
	v_lshlrev_b64 v[1:2], 3, v[1:2]
	s_waitcnt lgkmcnt(0)
	v_mov_b32_e32 v3, s1
	v_add_co_u32_e32 v1, vcc, s0, v1
	v_addc_co_u32_e32 v2, vcc, v3, v2, vcc
	global_load_dwordx2 v[1:2], v[1:2], off
	v_mbcnt_lo_u32_b32 v3, -1, 0
	v_mbcnt_hi_u32_b32 v3, -1, v3
	v_and_b32_e32 v6, 63, v3
	v_cmp_ne_u32_e32 vcc, 63, v6
	v_addc_co_u32_e32 v5, vcc, 0, v3, vcc
	v_lshlrev_b32_e32 v5, 2, v5
	v_and_b32_e32 v4, 0x1c0, v0
	v_sub_u32_e64 v4, s7, v4 clamp
	s_waitcnt vmcnt(0)
	ds_bpermute_b32 v8, v5, v1
	ds_bpermute_b32 v7, v5, v2
	v_add_u32_e32 v5, 1, v3
	v_cmp_lt_u32_e32 vcc, v5, v4
	v_mov_b32_e32 v5, v1
	s_and_saveexec_b64 s[0:1], vcc
	s_cbranch_execz .LBB65_2
; %bb.1:
	s_waitcnt lgkmcnt(1)
	v_add_co_u32_e32 v5, vcc, v1, v8
	v_addc_co_u32_e32 v2, vcc, 0, v2, vcc
	v_add_co_u32_e32 v1, vcc, 0, v5
	s_waitcnt lgkmcnt(0)
	v_addc_co_u32_e32 v2, vcc, v7, v2, vcc
.LBB65_2:
	s_or_b64 exec, exec, s[0:1]
	v_cmp_gt_u32_e32 vcc, 62, v6
	s_waitcnt lgkmcnt(0)
	v_cndmask_b32_e64 v7, 0, 2, vcc
	v_add_lshl_u32 v7, v7, v3, 2
	ds_bpermute_b32 v8, v7, v5
	ds_bpermute_b32 v7, v7, v2
	v_add_u32_e32 v9, 2, v3
	v_cmp_lt_u32_e32 vcc, v9, v4
	s_and_saveexec_b64 s[0:1], vcc
	s_cbranch_execz .LBB65_4
; %bb.3:
	s_waitcnt lgkmcnt(1)
	v_add_co_u32_e32 v5, vcc, v1, v8
	v_addc_co_u32_e32 v2, vcc, 0, v2, vcc
	v_add_co_u32_e32 v1, vcc, 0, v5
	s_waitcnt lgkmcnt(0)
	v_addc_co_u32_e32 v2, vcc, v7, v2, vcc
.LBB65_4:
	s_or_b64 exec, exec, s[0:1]
	v_cmp_gt_u32_e32 vcc, 60, v6
	s_waitcnt lgkmcnt(0)
	v_cndmask_b32_e64 v7, 0, 4, vcc
	v_add_lshl_u32 v7, v7, v3, 2
	ds_bpermute_b32 v8, v7, v5
	ds_bpermute_b32 v7, v7, v2
	v_add_u32_e32 v9, 4, v3
	v_cmp_lt_u32_e32 vcc, v9, v4
	;; [unrolled: 19-line block ×3, first 2 shown]
	s_and_saveexec_b64 s[0:1], vcc
	s_cbranch_execz .LBB65_8
; %bb.7:
	s_waitcnt lgkmcnt(1)
	v_add_co_u32_e32 v5, vcc, v1, v8
	v_addc_co_u32_e32 v2, vcc, 0, v2, vcc
	v_add_co_u32_e32 v1, vcc, 0, v5
	s_waitcnt lgkmcnt(0)
	v_addc_co_u32_e32 v2, vcc, v7, v2, vcc
.LBB65_8:
	s_or_b64 exec, exec, s[0:1]
	v_cmp_gt_u32_e32 vcc, 48, v6
	v_cndmask_b32_e64 v6, 0, 16, vcc
	v_add_lshl_u32 v6, v6, v3, 2
	s_waitcnt lgkmcnt(0)
	ds_bpermute_b32 v7, v6, v5
	ds_bpermute_b32 v6, v6, v2
	v_add_u32_e32 v8, 16, v3
	v_cmp_lt_u32_e32 vcc, v8, v4
	s_and_saveexec_b64 s[0:1], vcc
	s_cbranch_execz .LBB65_10
; %bb.9:
	s_waitcnt lgkmcnt(1)
	v_add_co_u32_e32 v5, vcc, v1, v7
	v_addc_co_u32_e32 v2, vcc, 0, v2, vcc
	v_add_co_u32_e32 v1, vcc, 0, v5
	s_waitcnt lgkmcnt(0)
	v_addc_co_u32_e32 v2, vcc, v6, v2, vcc
.LBB65_10:
	s_or_b64 exec, exec, s[0:1]
	s_waitcnt lgkmcnt(0)
	v_lshlrev_b32_e32 v6, 2, v3
	v_or_b32_e32 v7, 0x80, v6
	ds_bpermute_b32 v5, v7, v5
	ds_bpermute_b32 v7, v7, v2
	v_add_u32_e32 v8, 32, v3
	s_waitcnt lgkmcnt(1)
	v_add_co_u32_e32 v5, vcc, v1, v5
	v_addc_co_u32_e32 v9, vcc, 0, v2, vcc
	v_add_co_u32_e32 v5, vcc, 0, v5
	s_waitcnt lgkmcnt(0)
	v_addc_co_u32_e32 v7, vcc, v9, v7, vcc
	v_cmp_lt_u32_e32 vcc, v8, v4
	v_cndmask_b32_e32 v2, v2, v7, vcc
	v_cndmask_b32_e32 v1, v1, v5, vcc
	v_cmp_eq_u32_e32 vcc, 0, v3
	s_and_saveexec_b64 s[0:1], vcc
; %bb.11:
	v_lshrrev_b32_e32 v4, 3, v0
	v_and_b32_e32 v4, 56, v4
	ds_write_b64 v4, v[1:2]
; %bb.12:
	s_or_b64 exec, exec, s[0:1]
	v_cmp_gt_u32_e32 vcc, 6, v0
	s_waitcnt lgkmcnt(0)
	s_barrier
	s_and_saveexec_b64 s[0:1], vcc
	s_cbranch_execz .LBB65_18
; %bb.13:
	v_lshlrev_b32_e32 v1, 3, v3
	ds_read_b64 v[1:2], v1
	v_and_b32_e32 v4, 7, v3
	v_cmp_ne_u32_e32 vcc, 7, v4
	v_addc_co_u32_e32 v5, vcc, 0, v3, vcc
	v_lshlrev_b32_e32 v5, 2, v5
	s_waitcnt lgkmcnt(0)
	ds_bpermute_b32 v8, v5, v1
	ds_bpermute_b32 v7, v5, v2
	s_add_i32 s7, s7, 63
	s_lshr_b32 s7, s7, 6
	v_add_u32_e32 v5, 1, v4
	v_cmp_gt_u32_e32 vcc, s7, v5
	v_mov_b32_e32 v5, v1
	s_and_saveexec_b64 s[4:5], vcc
	s_cbranch_execz .LBB65_15
; %bb.14:
	s_waitcnt lgkmcnt(1)
	v_add_co_u32_e32 v5, vcc, v1, v8
	v_addc_co_u32_e32 v2, vcc, 0, v2, vcc
	v_add_co_u32_e32 v1, vcc, 0, v5
	s_waitcnt lgkmcnt(0)
	v_addc_co_u32_e32 v2, vcc, v7, v2, vcc
.LBB65_15:
	s_or_b64 exec, exec, s[4:5]
	v_cmp_gt_u32_e32 vcc, 6, v4
	s_waitcnt lgkmcnt(0)
	v_cndmask_b32_e64 v7, 0, 2, vcc
	v_add_lshl_u32 v3, v7, v3, 2
	ds_bpermute_b32 v7, v3, v5
	ds_bpermute_b32 v3, v3, v2
	v_add_u32_e32 v8, 2, v4
	v_cmp_gt_u32_e32 vcc, s7, v8
	s_and_saveexec_b64 s[4:5], vcc
	s_cbranch_execz .LBB65_17
; %bb.16:
	s_waitcnt lgkmcnt(1)
	v_add_co_u32_e32 v5, vcc, v1, v7
	v_addc_co_u32_e32 v2, vcc, 0, v2, vcc
	v_add_co_u32_e32 v1, vcc, 0, v5
	s_waitcnt lgkmcnt(0)
	v_addc_co_u32_e32 v2, vcc, v3, v2, vcc
.LBB65_17:
	s_or_b64 exec, exec, s[4:5]
	s_waitcnt lgkmcnt(0)
	v_or_b32_e32 v3, 16, v6
	ds_bpermute_b32 v5, v3, v5
	ds_bpermute_b32 v3, v3, v2
	v_add_u32_e32 v4, 4, v4
	s_waitcnt lgkmcnt(1)
	v_add_co_u32_e32 v5, vcc, v1, v5
	v_addc_co_u32_e32 v6, vcc, 0, v2, vcc
	v_add_co_u32_e32 v5, vcc, 0, v5
	s_waitcnt lgkmcnt(0)
	v_addc_co_u32_e32 v3, vcc, v6, v3, vcc
	v_cmp_gt_u32_e32 vcc, s7, v4
	v_cndmask_b32_e32 v2, v2, v3, vcc
	v_cndmask_b32_e32 v1, v1, v5, vcc
.LBB65_18:
	s_or_b64 exec, exec, s[0:1]
	s_mov_b32 s7, 0
	v_cmp_eq_u32_e32 vcc, 0, v0
	s_and_saveexec_b64 s[0:1], vcc
	s_cbranch_execz .LBB65_20
; %bb.19:
	s_lshl_b64 s[0:1], s[6:7], 3
	s_add_u32 s0, s2, s0
	s_addc_u32 s1, s3, s1
	v_mov_b32_e32 v0, 0
	global_store_dwordx2 v0, v[1:2], s[0:1]
.LBB65_20:
	s_endpgm
	.section	.rodata,"a",@progbits
	.p2align	6, 0x0
	.amdhsa_kernel _Z19reduce_valid_kernelILj377ELN6hipcub20BlockReduceAlgorithmE0ElEvPT1_S3_j
		.amdhsa_group_segment_fixed_size 48
		.amdhsa_private_segment_fixed_size 0
		.amdhsa_kernarg_size 20
		.amdhsa_user_sgpr_count 6
		.amdhsa_user_sgpr_private_segment_buffer 1
		.amdhsa_user_sgpr_dispatch_ptr 0
		.amdhsa_user_sgpr_queue_ptr 0
		.amdhsa_user_sgpr_kernarg_segment_ptr 1
		.amdhsa_user_sgpr_dispatch_id 0
		.amdhsa_user_sgpr_flat_scratch_init 0
		.amdhsa_user_sgpr_private_segment_size 0
		.amdhsa_uses_dynamic_stack 0
		.amdhsa_system_sgpr_private_segment_wavefront_offset 0
		.amdhsa_system_sgpr_workgroup_id_x 1
		.amdhsa_system_sgpr_workgroup_id_y 0
		.amdhsa_system_sgpr_workgroup_id_z 0
		.amdhsa_system_sgpr_workgroup_info 0
		.amdhsa_system_vgpr_workitem_id 0
		.amdhsa_next_free_vgpr 10
		.amdhsa_next_free_sgpr 8
		.amdhsa_reserve_vcc 1
		.amdhsa_reserve_flat_scratch 0
		.amdhsa_float_round_mode_32 0
		.amdhsa_float_round_mode_16_64 0
		.amdhsa_float_denorm_mode_32 3
		.amdhsa_float_denorm_mode_16_64 3
		.amdhsa_dx10_clamp 1
		.amdhsa_ieee_mode 1
		.amdhsa_fp16_overflow 0
		.amdhsa_exception_fp_ieee_invalid_op 0
		.amdhsa_exception_fp_denorm_src 0
		.amdhsa_exception_fp_ieee_div_zero 0
		.amdhsa_exception_fp_ieee_overflow 0
		.amdhsa_exception_fp_ieee_underflow 0
		.amdhsa_exception_fp_ieee_inexact 0
		.amdhsa_exception_int_div_zero 0
	.end_amdhsa_kernel
	.section	.text._Z19reduce_valid_kernelILj377ELN6hipcub20BlockReduceAlgorithmE0ElEvPT1_S3_j,"axG",@progbits,_Z19reduce_valid_kernelILj377ELN6hipcub20BlockReduceAlgorithmE0ElEvPT1_S3_j,comdat
.Lfunc_end65:
	.size	_Z19reduce_valid_kernelILj377ELN6hipcub20BlockReduceAlgorithmE0ElEvPT1_S3_j, .Lfunc_end65-_Z19reduce_valid_kernelILj377ELN6hipcub20BlockReduceAlgorithmE0ElEvPT1_S3_j
                                        ; -- End function
	.set _Z19reduce_valid_kernelILj377ELN6hipcub20BlockReduceAlgorithmE0ElEvPT1_S3_j.num_vgpr, 10
	.set _Z19reduce_valid_kernelILj377ELN6hipcub20BlockReduceAlgorithmE0ElEvPT1_S3_j.num_agpr, 0
	.set _Z19reduce_valid_kernelILj377ELN6hipcub20BlockReduceAlgorithmE0ElEvPT1_S3_j.numbered_sgpr, 8
	.set _Z19reduce_valid_kernelILj377ELN6hipcub20BlockReduceAlgorithmE0ElEvPT1_S3_j.num_named_barrier, 0
	.set _Z19reduce_valid_kernelILj377ELN6hipcub20BlockReduceAlgorithmE0ElEvPT1_S3_j.private_seg_size, 0
	.set _Z19reduce_valid_kernelILj377ELN6hipcub20BlockReduceAlgorithmE0ElEvPT1_S3_j.uses_vcc, 1
	.set _Z19reduce_valid_kernelILj377ELN6hipcub20BlockReduceAlgorithmE0ElEvPT1_S3_j.uses_flat_scratch, 0
	.set _Z19reduce_valid_kernelILj377ELN6hipcub20BlockReduceAlgorithmE0ElEvPT1_S3_j.has_dyn_sized_stack, 0
	.set _Z19reduce_valid_kernelILj377ELN6hipcub20BlockReduceAlgorithmE0ElEvPT1_S3_j.has_recursion, 0
	.set _Z19reduce_valid_kernelILj377ELN6hipcub20BlockReduceAlgorithmE0ElEvPT1_S3_j.has_indirect_call, 0
	.section	.AMDGPU.csdata,"",@progbits
; Kernel info:
; codeLenInByte = 936
; TotalNumSgprs: 12
; NumVgprs: 10
; ScratchSize: 0
; MemoryBound: 0
; FloatMode: 240
; IeeeMode: 1
; LDSByteSize: 48 bytes/workgroup (compile time only)
; SGPRBlocks: 1
; VGPRBlocks: 2
; NumSGPRsForWavesPerEU: 12
; NumVGPRsForWavesPerEU: 10
; Occupancy: 10
; WaveLimiterHint : 0
; COMPUTE_PGM_RSRC2:SCRATCH_EN: 0
; COMPUTE_PGM_RSRC2:USER_SGPR: 6
; COMPUTE_PGM_RSRC2:TRAP_HANDLER: 0
; COMPUTE_PGM_RSRC2:TGID_X_EN: 1
; COMPUTE_PGM_RSRC2:TGID_Y_EN: 0
; COMPUTE_PGM_RSRC2:TGID_Z_EN: 0
; COMPUTE_PGM_RSRC2:TIDIG_COMP_CNT: 0
	.section	.text._Z19reduce_valid_kernelILj256ELN6hipcub20BlockReduceAlgorithmE0ElEvPT1_S3_j,"axG",@progbits,_Z19reduce_valid_kernelILj256ELN6hipcub20BlockReduceAlgorithmE0ElEvPT1_S3_j,comdat
	.protected	_Z19reduce_valid_kernelILj256ELN6hipcub20BlockReduceAlgorithmE0ElEvPT1_S3_j ; -- Begin function _Z19reduce_valid_kernelILj256ELN6hipcub20BlockReduceAlgorithmE0ElEvPT1_S3_j
	.globl	_Z19reduce_valid_kernelILj256ELN6hipcub20BlockReduceAlgorithmE0ElEvPT1_S3_j
	.p2align	8
	.type	_Z19reduce_valid_kernelILj256ELN6hipcub20BlockReduceAlgorithmE0ElEvPT1_S3_j,@function
_Z19reduce_valid_kernelILj256ELN6hipcub20BlockReduceAlgorithmE0ElEvPT1_S3_j: ; @_Z19reduce_valid_kernelILj256ELN6hipcub20BlockReduceAlgorithmE0ElEvPT1_S3_j
; %bb.0:
	s_load_dwordx4 s[0:3], s[4:5], 0x0
	s_load_dword s7, s[4:5], 0x10
	v_lshl_or_b32 v1, s6, 8, v0
	v_mov_b32_e32 v2, 0
	v_lshlrev_b64 v[1:2], 3, v[1:2]
	s_waitcnt lgkmcnt(0)
	v_mov_b32_e32 v3, s1
	v_add_co_u32_e32 v1, vcc, s0, v1
	v_addc_co_u32_e32 v2, vcc, v3, v2, vcc
	global_load_dwordx2 v[1:2], v[1:2], off
	v_mbcnt_lo_u32_b32 v3, -1, 0
	v_mbcnt_hi_u32_b32 v3, -1, v3
	v_and_b32_e32 v6, 63, v3
	v_cmp_ne_u32_e32 vcc, 63, v6
	v_addc_co_u32_e32 v5, vcc, 0, v3, vcc
	v_lshlrev_b32_e32 v5, 2, v5
	v_and_b32_e32 v4, 0xc0, v0
	v_sub_u32_e64 v4, s7, v4 clamp
	s_waitcnt vmcnt(0)
	ds_bpermute_b32 v8, v5, v1
	ds_bpermute_b32 v7, v5, v2
	v_add_u32_e32 v5, 1, v3
	v_cmp_lt_u32_e32 vcc, v5, v4
	v_mov_b32_e32 v5, v1
	s_and_saveexec_b64 s[0:1], vcc
	s_cbranch_execz .LBB66_2
; %bb.1:
	s_waitcnt lgkmcnt(1)
	v_add_co_u32_e32 v5, vcc, v1, v8
	v_addc_co_u32_e32 v2, vcc, 0, v2, vcc
	v_add_co_u32_e32 v1, vcc, 0, v5
	s_waitcnt lgkmcnt(0)
	v_addc_co_u32_e32 v2, vcc, v7, v2, vcc
.LBB66_2:
	s_or_b64 exec, exec, s[0:1]
	v_cmp_gt_u32_e32 vcc, 62, v6
	s_waitcnt lgkmcnt(0)
	v_cndmask_b32_e64 v7, 0, 2, vcc
	v_add_lshl_u32 v7, v7, v3, 2
	ds_bpermute_b32 v8, v7, v5
	ds_bpermute_b32 v7, v7, v2
	v_add_u32_e32 v9, 2, v3
	v_cmp_lt_u32_e32 vcc, v9, v4
	s_and_saveexec_b64 s[0:1], vcc
	s_cbranch_execz .LBB66_4
; %bb.3:
	s_waitcnt lgkmcnt(1)
	v_add_co_u32_e32 v5, vcc, v1, v8
	v_addc_co_u32_e32 v2, vcc, 0, v2, vcc
	v_add_co_u32_e32 v1, vcc, 0, v5
	s_waitcnt lgkmcnt(0)
	v_addc_co_u32_e32 v2, vcc, v7, v2, vcc
.LBB66_4:
	s_or_b64 exec, exec, s[0:1]
	v_cmp_gt_u32_e32 vcc, 60, v6
	s_waitcnt lgkmcnt(0)
	v_cndmask_b32_e64 v7, 0, 4, vcc
	v_add_lshl_u32 v7, v7, v3, 2
	ds_bpermute_b32 v8, v7, v5
	ds_bpermute_b32 v7, v7, v2
	v_add_u32_e32 v9, 4, v3
	v_cmp_lt_u32_e32 vcc, v9, v4
	;; [unrolled: 19-line block ×3, first 2 shown]
	s_and_saveexec_b64 s[0:1], vcc
	s_cbranch_execz .LBB66_8
; %bb.7:
	s_waitcnt lgkmcnt(1)
	v_add_co_u32_e32 v5, vcc, v1, v8
	v_addc_co_u32_e32 v2, vcc, 0, v2, vcc
	v_add_co_u32_e32 v1, vcc, 0, v5
	s_waitcnt lgkmcnt(0)
	v_addc_co_u32_e32 v2, vcc, v7, v2, vcc
.LBB66_8:
	s_or_b64 exec, exec, s[0:1]
	v_cmp_gt_u32_e32 vcc, 48, v6
	v_cndmask_b32_e64 v6, 0, 16, vcc
	v_add_lshl_u32 v6, v6, v3, 2
	s_waitcnt lgkmcnt(0)
	ds_bpermute_b32 v7, v6, v5
	ds_bpermute_b32 v6, v6, v2
	v_add_u32_e32 v8, 16, v3
	v_cmp_lt_u32_e32 vcc, v8, v4
	s_and_saveexec_b64 s[0:1], vcc
	s_cbranch_execz .LBB66_10
; %bb.9:
	s_waitcnt lgkmcnt(1)
	v_add_co_u32_e32 v5, vcc, v1, v7
	v_addc_co_u32_e32 v2, vcc, 0, v2, vcc
	v_add_co_u32_e32 v1, vcc, 0, v5
	s_waitcnt lgkmcnt(0)
	v_addc_co_u32_e32 v2, vcc, v6, v2, vcc
.LBB66_10:
	s_or_b64 exec, exec, s[0:1]
	s_waitcnt lgkmcnt(0)
	v_lshlrev_b32_e32 v6, 2, v3
	v_or_b32_e32 v7, 0x80, v6
	ds_bpermute_b32 v5, v7, v5
	ds_bpermute_b32 v7, v7, v2
	v_add_u32_e32 v8, 32, v3
	s_waitcnt lgkmcnt(1)
	v_add_co_u32_e32 v5, vcc, v1, v5
	v_addc_co_u32_e32 v9, vcc, 0, v2, vcc
	v_add_co_u32_e32 v5, vcc, 0, v5
	s_waitcnt lgkmcnt(0)
	v_addc_co_u32_e32 v7, vcc, v9, v7, vcc
	v_cmp_lt_u32_e32 vcc, v8, v4
	v_cndmask_b32_e32 v2, v2, v7, vcc
	v_cndmask_b32_e32 v1, v1, v5, vcc
	v_cmp_eq_u32_e32 vcc, 0, v3
	s_and_saveexec_b64 s[0:1], vcc
; %bb.11:
	v_lshrrev_b32_e32 v4, 3, v0
	v_and_b32_e32 v4, 24, v4
	ds_write_b64 v4, v[1:2]
; %bb.12:
	s_or_b64 exec, exec, s[0:1]
	v_cmp_gt_u32_e32 vcc, 4, v0
	s_waitcnt lgkmcnt(0)
	s_barrier
	s_and_saveexec_b64 s[0:1], vcc
	s_cbranch_execz .LBB66_16
; %bb.13:
	v_lshlrev_b32_e32 v1, 3, v3
	ds_read_b64 v[1:2], v1
	v_and_b32_e32 v4, 3, v3
	v_cmp_ne_u32_e32 vcc, 3, v4
	v_addc_co_u32_e32 v3, vcc, 0, v3, vcc
	v_lshlrev_b32_e32 v3, 2, v3
	s_waitcnt lgkmcnt(0)
	ds_bpermute_b32 v7, v3, v1
	ds_bpermute_b32 v5, v3, v2
	s_add_i32 s7, s7, 63
	s_lshr_b32 s7, s7, 6
	v_add_u32_e32 v3, 1, v4
	v_cmp_gt_u32_e32 vcc, s7, v3
	v_mov_b32_e32 v3, v1
	s_and_saveexec_b64 s[4:5], vcc
	s_cbranch_execz .LBB66_15
; %bb.14:
	s_waitcnt lgkmcnt(1)
	v_add_co_u32_e32 v3, vcc, v1, v7
	v_addc_co_u32_e32 v2, vcc, 0, v2, vcc
	v_add_co_u32_e32 v1, vcc, 0, v3
	s_waitcnt lgkmcnt(0)
	v_addc_co_u32_e32 v2, vcc, v5, v2, vcc
.LBB66_15:
	s_or_b64 exec, exec, s[4:5]
	s_waitcnt lgkmcnt(0)
	v_or_b32_e32 v5, 8, v6
	ds_bpermute_b32 v3, v5, v3
	ds_bpermute_b32 v5, v5, v2
	v_add_u32_e32 v4, 2, v4
	s_waitcnt lgkmcnt(1)
	v_add_co_u32_e32 v3, vcc, v1, v3
	v_addc_co_u32_e32 v6, vcc, 0, v2, vcc
	v_add_co_u32_e32 v3, vcc, 0, v3
	s_waitcnt lgkmcnt(0)
	v_addc_co_u32_e32 v5, vcc, v6, v5, vcc
	v_cmp_gt_u32_e32 vcc, s7, v4
	v_cndmask_b32_e32 v2, v2, v5, vcc
	v_cndmask_b32_e32 v1, v1, v3, vcc
.LBB66_16:
	s_or_b64 exec, exec, s[0:1]
	s_mov_b32 s7, 0
	v_cmp_eq_u32_e32 vcc, 0, v0
	s_and_saveexec_b64 s[0:1], vcc
	s_cbranch_execz .LBB66_18
; %bb.17:
	s_lshl_b64 s[0:1], s[6:7], 3
	s_add_u32 s0, s2, s0
	s_addc_u32 s1, s3, s1
	v_mov_b32_e32 v0, 0
	global_store_dwordx2 v0, v[1:2], s[0:1]
.LBB66_18:
	s_endpgm
	.section	.rodata,"a",@progbits
	.p2align	6, 0x0
	.amdhsa_kernel _Z19reduce_valid_kernelILj256ELN6hipcub20BlockReduceAlgorithmE0ElEvPT1_S3_j
		.amdhsa_group_segment_fixed_size 32
		.amdhsa_private_segment_fixed_size 0
		.amdhsa_kernarg_size 20
		.amdhsa_user_sgpr_count 6
		.amdhsa_user_sgpr_private_segment_buffer 1
		.amdhsa_user_sgpr_dispatch_ptr 0
		.amdhsa_user_sgpr_queue_ptr 0
		.amdhsa_user_sgpr_kernarg_segment_ptr 1
		.amdhsa_user_sgpr_dispatch_id 0
		.amdhsa_user_sgpr_flat_scratch_init 0
		.amdhsa_user_sgpr_private_segment_size 0
		.amdhsa_uses_dynamic_stack 0
		.amdhsa_system_sgpr_private_segment_wavefront_offset 0
		.amdhsa_system_sgpr_workgroup_id_x 1
		.amdhsa_system_sgpr_workgroup_id_y 0
		.amdhsa_system_sgpr_workgroup_id_z 0
		.amdhsa_system_sgpr_workgroup_info 0
		.amdhsa_system_vgpr_workitem_id 0
		.amdhsa_next_free_vgpr 10
		.amdhsa_next_free_sgpr 8
		.amdhsa_reserve_vcc 1
		.amdhsa_reserve_flat_scratch 0
		.amdhsa_float_round_mode_32 0
		.amdhsa_float_round_mode_16_64 0
		.amdhsa_float_denorm_mode_32 3
		.amdhsa_float_denorm_mode_16_64 3
		.amdhsa_dx10_clamp 1
		.amdhsa_ieee_mode 1
		.amdhsa_fp16_overflow 0
		.amdhsa_exception_fp_ieee_invalid_op 0
		.amdhsa_exception_fp_denorm_src 0
		.amdhsa_exception_fp_ieee_div_zero 0
		.amdhsa_exception_fp_ieee_overflow 0
		.amdhsa_exception_fp_ieee_underflow 0
		.amdhsa_exception_fp_ieee_inexact 0
		.amdhsa_exception_int_div_zero 0
	.end_amdhsa_kernel
	.section	.text._Z19reduce_valid_kernelILj256ELN6hipcub20BlockReduceAlgorithmE0ElEvPT1_S3_j,"axG",@progbits,_Z19reduce_valid_kernelILj256ELN6hipcub20BlockReduceAlgorithmE0ElEvPT1_S3_j,comdat
.Lfunc_end66:
	.size	_Z19reduce_valid_kernelILj256ELN6hipcub20BlockReduceAlgorithmE0ElEvPT1_S3_j, .Lfunc_end66-_Z19reduce_valid_kernelILj256ELN6hipcub20BlockReduceAlgorithmE0ElEvPT1_S3_j
                                        ; -- End function
	.set _Z19reduce_valid_kernelILj256ELN6hipcub20BlockReduceAlgorithmE0ElEvPT1_S3_j.num_vgpr, 10
	.set _Z19reduce_valid_kernelILj256ELN6hipcub20BlockReduceAlgorithmE0ElEvPT1_S3_j.num_agpr, 0
	.set _Z19reduce_valid_kernelILj256ELN6hipcub20BlockReduceAlgorithmE0ElEvPT1_S3_j.numbered_sgpr, 8
	.set _Z19reduce_valid_kernelILj256ELN6hipcub20BlockReduceAlgorithmE0ElEvPT1_S3_j.num_named_barrier, 0
	.set _Z19reduce_valid_kernelILj256ELN6hipcub20BlockReduceAlgorithmE0ElEvPT1_S3_j.private_seg_size, 0
	.set _Z19reduce_valid_kernelILj256ELN6hipcub20BlockReduceAlgorithmE0ElEvPT1_S3_j.uses_vcc, 1
	.set _Z19reduce_valid_kernelILj256ELN6hipcub20BlockReduceAlgorithmE0ElEvPT1_S3_j.uses_flat_scratch, 0
	.set _Z19reduce_valid_kernelILj256ELN6hipcub20BlockReduceAlgorithmE0ElEvPT1_S3_j.has_dyn_sized_stack, 0
	.set _Z19reduce_valid_kernelILj256ELN6hipcub20BlockReduceAlgorithmE0ElEvPT1_S3_j.has_recursion, 0
	.set _Z19reduce_valid_kernelILj256ELN6hipcub20BlockReduceAlgorithmE0ElEvPT1_S3_j.has_indirect_call, 0
	.section	.AMDGPU.csdata,"",@progbits
; Kernel info:
; codeLenInByte = 848
; TotalNumSgprs: 12
; NumVgprs: 10
; ScratchSize: 0
; MemoryBound: 0
; FloatMode: 240
; IeeeMode: 1
; LDSByteSize: 32 bytes/workgroup (compile time only)
; SGPRBlocks: 1
; VGPRBlocks: 2
; NumSGPRsForWavesPerEU: 12
; NumVGPRsForWavesPerEU: 10
; Occupancy: 10
; WaveLimiterHint : 0
; COMPUTE_PGM_RSRC2:SCRATCH_EN: 0
; COMPUTE_PGM_RSRC2:USER_SGPR: 6
; COMPUTE_PGM_RSRC2:TRAP_HANDLER: 0
; COMPUTE_PGM_RSRC2:TGID_X_EN: 1
; COMPUTE_PGM_RSRC2:TGID_Y_EN: 0
; COMPUTE_PGM_RSRC2:TGID_Z_EN: 0
; COMPUTE_PGM_RSRC2:TIDIG_COMP_CNT: 0
	.section	.text._Z19reduce_valid_kernelILj64ELN6hipcub20BlockReduceAlgorithmE0ElEvPT1_S3_j,"axG",@progbits,_Z19reduce_valid_kernelILj64ELN6hipcub20BlockReduceAlgorithmE0ElEvPT1_S3_j,comdat
	.protected	_Z19reduce_valid_kernelILj64ELN6hipcub20BlockReduceAlgorithmE0ElEvPT1_S3_j ; -- Begin function _Z19reduce_valid_kernelILj64ELN6hipcub20BlockReduceAlgorithmE0ElEvPT1_S3_j
	.globl	_Z19reduce_valid_kernelILj64ELN6hipcub20BlockReduceAlgorithmE0ElEvPT1_S3_j
	.p2align	8
	.type	_Z19reduce_valid_kernelILj64ELN6hipcub20BlockReduceAlgorithmE0ElEvPT1_S3_j,@function
_Z19reduce_valid_kernelILj64ELN6hipcub20BlockReduceAlgorithmE0ElEvPT1_S3_j: ; @_Z19reduce_valid_kernelILj64ELN6hipcub20BlockReduceAlgorithmE0ElEvPT1_S3_j
; %bb.0:
	s_load_dwordx4 s[0:3], s[4:5], 0x0
	s_load_dword s8, s[4:5], 0x10
	v_lshl_or_b32 v1, s6, 6, v0
	v_mov_b32_e32 v2, 0
	v_lshlrev_b64 v[1:2], 3, v[1:2]
	s_waitcnt lgkmcnt(0)
	v_mov_b32_e32 v3, s1
	v_add_co_u32_e32 v1, vcc, s0, v1
	v_addc_co_u32_e32 v2, vcc, v3, v2, vcc
	global_load_dwordx2 v[1:2], v[1:2], off
	v_mbcnt_lo_u32_b32 v3, -1, 0
	v_mbcnt_hi_u32_b32 v3, -1, v3
	v_and_b32_e32 v5, 63, v3
	v_cmp_ne_u32_e32 vcc, 63, v5
	v_addc_co_u32_e32 v4, vcc, 0, v3, vcc
	v_lshlrev_b32_e32 v4, 2, v4
	s_waitcnt vmcnt(0)
	ds_bpermute_b32 v7, v4, v1
	ds_bpermute_b32 v6, v4, v2
	v_add_u32_e32 v4, 1, v3
	v_cmp_gt_u32_e32 vcc, s8, v4
	v_mov_b32_e32 v4, v1
	s_and_saveexec_b64 s[0:1], vcc
	s_cbranch_execz .LBB67_2
; %bb.1:
	s_waitcnt lgkmcnt(1)
	v_add_co_u32_e32 v4, vcc, v1, v7
	v_addc_co_u32_e32 v2, vcc, 0, v2, vcc
	v_add_co_u32_e32 v1, vcc, 0, v4
	s_waitcnt lgkmcnt(0)
	v_addc_co_u32_e32 v2, vcc, v6, v2, vcc
.LBB67_2:
	s_or_b64 exec, exec, s[0:1]
	v_cmp_gt_u32_e32 vcc, 62, v5
	s_waitcnt lgkmcnt(0)
	v_cndmask_b32_e64 v6, 0, 2, vcc
	v_add_lshl_u32 v6, v6, v3, 2
	ds_bpermute_b32 v7, v6, v4
	ds_bpermute_b32 v6, v6, v2
	v_add_u32_e32 v8, 2, v3
	v_cmp_gt_u32_e32 vcc, s8, v8
	s_and_saveexec_b64 s[0:1], vcc
	s_cbranch_execz .LBB67_4
; %bb.3:
	s_waitcnt lgkmcnt(1)
	v_add_co_u32_e32 v4, vcc, v1, v7
	v_addc_co_u32_e32 v2, vcc, 0, v2, vcc
	v_add_co_u32_e32 v1, vcc, 0, v4
	s_waitcnt lgkmcnt(0)
	v_addc_co_u32_e32 v2, vcc, v6, v2, vcc
.LBB67_4:
	s_or_b64 exec, exec, s[0:1]
	v_cmp_gt_u32_e32 vcc, 60, v5
	s_waitcnt lgkmcnt(0)
	v_cndmask_b32_e64 v6, 0, 4, vcc
	v_add_lshl_u32 v6, v6, v3, 2
	ds_bpermute_b32 v7, v6, v4
	ds_bpermute_b32 v6, v6, v2
	v_add_u32_e32 v8, 4, v3
	v_cmp_gt_u32_e32 vcc, s8, v8
	;; [unrolled: 19-line block ×3, first 2 shown]
	s_and_saveexec_b64 s[0:1], vcc
	s_cbranch_execz .LBB67_8
; %bb.7:
	s_waitcnt lgkmcnt(1)
	v_add_co_u32_e32 v4, vcc, v1, v7
	v_addc_co_u32_e32 v2, vcc, 0, v2, vcc
	v_add_co_u32_e32 v1, vcc, 0, v4
	s_waitcnt lgkmcnt(0)
	v_addc_co_u32_e32 v2, vcc, v6, v2, vcc
.LBB67_8:
	s_or_b64 exec, exec, s[0:1]
	v_cmp_gt_u32_e32 vcc, 48, v5
	v_cndmask_b32_e64 v5, 0, 16, vcc
	v_add_lshl_u32 v5, v5, v3, 2
	s_waitcnt lgkmcnt(0)
	ds_bpermute_b32 v6, v5, v4
	ds_bpermute_b32 v5, v5, v2
	v_add_u32_e32 v7, 16, v3
	v_cmp_gt_u32_e32 vcc, s8, v7
	s_and_saveexec_b64 s[0:1], vcc
	s_cbranch_execz .LBB67_10
; %bb.9:
	s_waitcnt lgkmcnt(1)
	v_add_co_u32_e32 v4, vcc, v1, v6
	v_addc_co_u32_e32 v2, vcc, 0, v2, vcc
	v_add_co_u32_e32 v1, vcc, 0, v4
	s_waitcnt lgkmcnt(0)
	v_addc_co_u32_e32 v2, vcc, v5, v2, vcc
.LBB67_10:
	s_or_b64 exec, exec, s[0:1]
	s_waitcnt lgkmcnt(0)
	v_mov_b32_e32 v5, 0x80
	v_lshl_or_b32 v6, v3, 2, v5
	ds_bpermute_b32 v5, v6, v4
	ds_bpermute_b32 v4, v6, v2
	v_cmp_eq_u32_e32 vcc, 0, v0
	s_and_saveexec_b64 s[0:1], vcc
	s_cbranch_execz .LBB67_12
; %bb.11:
	s_waitcnt lgkmcnt(1)
	v_add_co_u32_e32 v5, vcc, v1, v5
	v_addc_co_u32_e32 v6, vcc, 0, v2, vcc
	s_mov_b32 s7, 0
	v_add_co_u32_e32 v5, vcc, 0, v5
	s_lshl_b64 s[0:1], s[6:7], 3
	v_add_u32_e32 v3, 32, v3
	s_waitcnt lgkmcnt(0)
	v_addc_co_u32_e32 v4, vcc, v6, v4, vcc
	s_add_u32 s0, s2, s0
	v_cmp_gt_u32_e32 vcc, s8, v3
	s_addc_u32 s1, s3, s1
	v_mov_b32_e32 v0, 0
	v_cndmask_b32_e32 v2, v2, v4, vcc
	v_cndmask_b32_e32 v1, v1, v5, vcc
	global_store_dwordx2 v0, v[1:2], s[0:1]
.LBB67_12:
	s_endpgm
	.section	.rodata,"a",@progbits
	.p2align	6, 0x0
	.amdhsa_kernel _Z19reduce_valid_kernelILj64ELN6hipcub20BlockReduceAlgorithmE0ElEvPT1_S3_j
		.amdhsa_group_segment_fixed_size 0
		.amdhsa_private_segment_fixed_size 0
		.amdhsa_kernarg_size 20
		.amdhsa_user_sgpr_count 6
		.amdhsa_user_sgpr_private_segment_buffer 1
		.amdhsa_user_sgpr_dispatch_ptr 0
		.amdhsa_user_sgpr_queue_ptr 0
		.amdhsa_user_sgpr_kernarg_segment_ptr 1
		.amdhsa_user_sgpr_dispatch_id 0
		.amdhsa_user_sgpr_flat_scratch_init 0
		.amdhsa_user_sgpr_private_segment_size 0
		.amdhsa_uses_dynamic_stack 0
		.amdhsa_system_sgpr_private_segment_wavefront_offset 0
		.amdhsa_system_sgpr_workgroup_id_x 1
		.amdhsa_system_sgpr_workgroup_id_y 0
		.amdhsa_system_sgpr_workgroup_id_z 0
		.amdhsa_system_sgpr_workgroup_info 0
		.amdhsa_system_vgpr_workitem_id 0
		.amdhsa_next_free_vgpr 9
		.amdhsa_next_free_sgpr 9
		.amdhsa_reserve_vcc 1
		.amdhsa_reserve_flat_scratch 0
		.amdhsa_float_round_mode_32 0
		.amdhsa_float_round_mode_16_64 0
		.amdhsa_float_denorm_mode_32 3
		.amdhsa_float_denorm_mode_16_64 3
		.amdhsa_dx10_clamp 1
		.amdhsa_ieee_mode 1
		.amdhsa_fp16_overflow 0
		.amdhsa_exception_fp_ieee_invalid_op 0
		.amdhsa_exception_fp_denorm_src 0
		.amdhsa_exception_fp_ieee_div_zero 0
		.amdhsa_exception_fp_ieee_overflow 0
		.amdhsa_exception_fp_ieee_underflow 0
		.amdhsa_exception_fp_ieee_inexact 0
		.amdhsa_exception_int_div_zero 0
	.end_amdhsa_kernel
	.section	.text._Z19reduce_valid_kernelILj64ELN6hipcub20BlockReduceAlgorithmE0ElEvPT1_S3_j,"axG",@progbits,_Z19reduce_valid_kernelILj64ELN6hipcub20BlockReduceAlgorithmE0ElEvPT1_S3_j,comdat
.Lfunc_end67:
	.size	_Z19reduce_valid_kernelILj64ELN6hipcub20BlockReduceAlgorithmE0ElEvPT1_S3_j, .Lfunc_end67-_Z19reduce_valid_kernelILj64ELN6hipcub20BlockReduceAlgorithmE0ElEvPT1_S3_j
                                        ; -- End function
	.set _Z19reduce_valid_kernelILj64ELN6hipcub20BlockReduceAlgorithmE0ElEvPT1_S3_j.num_vgpr, 9
	.set _Z19reduce_valid_kernelILj64ELN6hipcub20BlockReduceAlgorithmE0ElEvPT1_S3_j.num_agpr, 0
	.set _Z19reduce_valid_kernelILj64ELN6hipcub20BlockReduceAlgorithmE0ElEvPT1_S3_j.numbered_sgpr, 9
	.set _Z19reduce_valid_kernelILj64ELN6hipcub20BlockReduceAlgorithmE0ElEvPT1_S3_j.num_named_barrier, 0
	.set _Z19reduce_valid_kernelILj64ELN6hipcub20BlockReduceAlgorithmE0ElEvPT1_S3_j.private_seg_size, 0
	.set _Z19reduce_valid_kernelILj64ELN6hipcub20BlockReduceAlgorithmE0ElEvPT1_S3_j.uses_vcc, 1
	.set _Z19reduce_valid_kernelILj64ELN6hipcub20BlockReduceAlgorithmE0ElEvPT1_S3_j.uses_flat_scratch, 0
	.set _Z19reduce_valid_kernelILj64ELN6hipcub20BlockReduceAlgorithmE0ElEvPT1_S3_j.has_dyn_sized_stack, 0
	.set _Z19reduce_valid_kernelILj64ELN6hipcub20BlockReduceAlgorithmE0ElEvPT1_S3_j.has_recursion, 0
	.set _Z19reduce_valid_kernelILj64ELN6hipcub20BlockReduceAlgorithmE0ElEvPT1_S3_j.has_indirect_call, 0
	.section	.AMDGPU.csdata,"",@progbits
; Kernel info:
; codeLenInByte = 616
; TotalNumSgprs: 13
; NumVgprs: 9
; ScratchSize: 0
; MemoryBound: 0
; FloatMode: 240
; IeeeMode: 1
; LDSByteSize: 0 bytes/workgroup (compile time only)
; SGPRBlocks: 1
; VGPRBlocks: 2
; NumSGPRsForWavesPerEU: 13
; NumVGPRsForWavesPerEU: 9
; Occupancy: 10
; WaveLimiterHint : 0
; COMPUTE_PGM_RSRC2:SCRATCH_EN: 0
; COMPUTE_PGM_RSRC2:USER_SGPR: 6
; COMPUTE_PGM_RSRC2:TRAP_HANDLER: 0
; COMPUTE_PGM_RSRC2:TGID_X_EN: 1
; COMPUTE_PGM_RSRC2:TGID_Y_EN: 0
; COMPUTE_PGM_RSRC2:TGID_Z_EN: 0
; COMPUTE_PGM_RSRC2:TIDIG_COMP_CNT: 0
	.section	.text._Z19reduce_valid_kernelILj377ELN6hipcub20BlockReduceAlgorithmE0EjEvPT1_S3_j,"axG",@progbits,_Z19reduce_valid_kernelILj377ELN6hipcub20BlockReduceAlgorithmE0EjEvPT1_S3_j,comdat
	.protected	_Z19reduce_valid_kernelILj377ELN6hipcub20BlockReduceAlgorithmE0EjEvPT1_S3_j ; -- Begin function _Z19reduce_valid_kernelILj377ELN6hipcub20BlockReduceAlgorithmE0EjEvPT1_S3_j
	.globl	_Z19reduce_valid_kernelILj377ELN6hipcub20BlockReduceAlgorithmE0EjEvPT1_S3_j
	.p2align	8
	.type	_Z19reduce_valid_kernelILj377ELN6hipcub20BlockReduceAlgorithmE0EjEvPT1_S3_j,@function
_Z19reduce_valid_kernelILj377ELN6hipcub20BlockReduceAlgorithmE0EjEvPT1_S3_j: ; @_Z19reduce_valid_kernelILj377ELN6hipcub20BlockReduceAlgorithmE0EjEvPT1_S3_j
; %bb.0:
	s_load_dwordx4 s[0:3], s[4:5], 0x0
	s_load_dword s7, s[4:5], 0x10
	s_mul_i32 s4, s6, 0x179
	v_add_u32_e32 v1, s4, v0
	v_mov_b32_e32 v2, 0
	v_lshlrev_b64 v[1:2], 2, v[1:2]
	s_waitcnt lgkmcnt(0)
	v_mov_b32_e32 v3, s1
	v_add_co_u32_e32 v1, vcc, s0, v1
	v_addc_co_u32_e32 v2, vcc, v3, v2, vcc
	global_load_dword v2, v[1:2], off
	v_mbcnt_lo_u32_b32 v1, -1, 0
	v_mbcnt_hi_u32_b32 v1, -1, v1
	v_and_b32_e32 v4, 63, v1
	v_cmp_ne_u32_e32 vcc, 63, v4
	v_addc_co_u32_e32 v9, vcc, 0, v1, vcc
	v_lshlrev_b32_e32 v9, 2, v9
	v_and_b32_e32 v3, 0x1c0, v0
	v_add_u32_e32 v5, 1, v1
	v_cmp_gt_u32_e32 vcc, 62, v4
	v_sub_u32_e64 v3, s7, v3 clamp
	v_cndmask_b32_e64 v10, 0, 2, vcc
	v_cmp_lt_u32_e32 vcc, v5, v3
	v_add_lshl_u32 v10, v10, v1, 2
	v_add_u32_e32 v6, 2, v1
	v_add_u32_e32 v7, 4, v1
	;; [unrolled: 1-line block ×3, first 2 shown]
	s_waitcnt vmcnt(0)
	ds_bpermute_b32 v9, v9, v2
	s_waitcnt lgkmcnt(0)
	v_cndmask_b32_e32 v5, 0, v9, vcc
	v_add_u32_e32 v2, v5, v2
	ds_bpermute_b32 v5, v10, v2
	v_cmp_gt_u32_e32 vcc, 60, v4
	v_cndmask_b32_e64 v9, 0, 4, vcc
	v_cmp_lt_u32_e32 vcc, v6, v3
	v_add_lshl_u32 v9, v9, v1, 2
	s_waitcnt lgkmcnt(0)
	v_cndmask_b32_e32 v5, 0, v5, vcc
	v_add_u32_e32 v2, v2, v5
	ds_bpermute_b32 v5, v9, v2
	v_cmp_gt_u32_e32 vcc, 56, v4
	v_cndmask_b32_e64 v6, 0, 8, vcc
	v_cmp_lt_u32_e32 vcc, v7, v3
	v_add_lshl_u32 v6, v6, v1, 2
	;; [unrolled: 8-line block ×3, first 2 shown]
	s_waitcnt lgkmcnt(0)
	v_cndmask_b32_e32 v5, 0, v5, vcc
	v_add_u32_e32 v5, v2, v5
	ds_bpermute_b32 v4, v4, v5
	v_add_u32_e32 v6, 16, v1
	v_cmp_lt_u32_e32 vcc, v6, v3
	v_lshlrev_b32_e32 v2, 2, v1
	v_or_b32_e32 v7, 0x80, v2
	s_waitcnt lgkmcnt(0)
	v_cndmask_b32_e32 v4, 0, v4, vcc
	v_add_u32_e32 v4, v5, v4
	ds_bpermute_b32 v5, v7, v4
	v_add_u32_e32 v6, 32, v1
	v_cmp_lt_u32_e32 vcc, v6, v3
	s_waitcnt lgkmcnt(0)
	v_cndmask_b32_e32 v3, 0, v5, vcc
	v_add_u32_e32 v3, v4, v3
	v_cmp_eq_u32_e32 vcc, 0, v1
	s_and_saveexec_b64 s[0:1], vcc
; %bb.1:
	v_lshrrev_b32_e32 v4, 4, v0
	v_and_b32_e32 v4, 28, v4
	ds_write_b32 v4, v3
; %bb.2:
	s_or_b64 exec, exec, s[0:1]
	v_cmp_gt_u32_e32 vcc, 6, v0
	s_waitcnt lgkmcnt(0)
	s_barrier
	s_and_saveexec_b64 s[0:1], vcc
	s_cbranch_execz .LBB68_4
; %bb.3:
	ds_read_b32 v3, v2
	v_and_b32_e32 v4, 7, v1
	v_cmp_ne_u32_e32 vcc, 7, v4
	v_addc_co_u32_e32 v5, vcc, 0, v1, vcc
	v_lshlrev_b32_e32 v5, 2, v5
	s_waitcnt lgkmcnt(0)
	ds_bpermute_b32 v5, v5, v3
	s_add_i32 s7, s7, 63
	s_lshr_b32 s4, s7, 6
	v_add_u32_e32 v6, 1, v4
	v_cmp_gt_u32_e32 vcc, s4, v6
	s_waitcnt lgkmcnt(0)
	v_cndmask_b32_e32 v5, 0, v5, vcc
	v_cmp_gt_u32_e32 vcc, 6, v4
	v_add_u32_e32 v3, v5, v3
	v_cndmask_b32_e64 v5, 0, 2, vcc
	v_add_lshl_u32 v1, v5, v1, 2
	ds_bpermute_b32 v1, v1, v3
	v_add_u32_e32 v5, 2, v4
	v_cmp_gt_u32_e32 vcc, s4, v5
	v_or_b32_e32 v2, 16, v2
	s_waitcnt lgkmcnt(0)
	v_cndmask_b32_e32 v1, 0, v1, vcc
	v_add_u32_e32 v1, v3, v1
	ds_bpermute_b32 v2, v2, v1
	v_add_u32_e32 v3, 4, v4
	v_cmp_gt_u32_e32 vcc, s4, v3
	s_waitcnt lgkmcnt(0)
	v_cndmask_b32_e32 v2, 0, v2, vcc
	v_add_u32_e32 v3, v1, v2
.LBB68_4:
	s_or_b64 exec, exec, s[0:1]
	s_mov_b32 s7, 0
	v_cmp_eq_u32_e32 vcc, 0, v0
	s_and_saveexec_b64 s[0:1], vcc
	s_cbranch_execz .LBB68_6
; %bb.5:
	s_lshl_b64 s[0:1], s[6:7], 2
	s_add_u32 s0, s2, s0
	s_addc_u32 s1, s3, s1
	v_mov_b32_e32 v0, 0
	global_store_dword v0, v3, s[0:1]
.LBB68_6:
	s_endpgm
	.section	.rodata,"a",@progbits
	.p2align	6, 0x0
	.amdhsa_kernel _Z19reduce_valid_kernelILj377ELN6hipcub20BlockReduceAlgorithmE0EjEvPT1_S3_j
		.amdhsa_group_segment_fixed_size 24
		.amdhsa_private_segment_fixed_size 0
		.amdhsa_kernarg_size 20
		.amdhsa_user_sgpr_count 6
		.amdhsa_user_sgpr_private_segment_buffer 1
		.amdhsa_user_sgpr_dispatch_ptr 0
		.amdhsa_user_sgpr_queue_ptr 0
		.amdhsa_user_sgpr_kernarg_segment_ptr 1
		.amdhsa_user_sgpr_dispatch_id 0
		.amdhsa_user_sgpr_flat_scratch_init 0
		.amdhsa_user_sgpr_private_segment_size 0
		.amdhsa_uses_dynamic_stack 0
		.amdhsa_system_sgpr_private_segment_wavefront_offset 0
		.amdhsa_system_sgpr_workgroup_id_x 1
		.amdhsa_system_sgpr_workgroup_id_y 0
		.amdhsa_system_sgpr_workgroup_id_z 0
		.amdhsa_system_sgpr_workgroup_info 0
		.amdhsa_system_vgpr_workitem_id 0
		.amdhsa_next_free_vgpr 11
		.amdhsa_next_free_sgpr 8
		.amdhsa_reserve_vcc 1
		.amdhsa_reserve_flat_scratch 0
		.amdhsa_float_round_mode_32 0
		.amdhsa_float_round_mode_16_64 0
		.amdhsa_float_denorm_mode_32 3
		.amdhsa_float_denorm_mode_16_64 3
		.amdhsa_dx10_clamp 1
		.amdhsa_ieee_mode 1
		.amdhsa_fp16_overflow 0
		.amdhsa_exception_fp_ieee_invalid_op 0
		.amdhsa_exception_fp_denorm_src 0
		.amdhsa_exception_fp_ieee_div_zero 0
		.amdhsa_exception_fp_ieee_overflow 0
		.amdhsa_exception_fp_ieee_underflow 0
		.amdhsa_exception_fp_ieee_inexact 0
		.amdhsa_exception_int_div_zero 0
	.end_amdhsa_kernel
	.section	.text._Z19reduce_valid_kernelILj377ELN6hipcub20BlockReduceAlgorithmE0EjEvPT1_S3_j,"axG",@progbits,_Z19reduce_valid_kernelILj377ELN6hipcub20BlockReduceAlgorithmE0EjEvPT1_S3_j,comdat
.Lfunc_end68:
	.size	_Z19reduce_valid_kernelILj377ELN6hipcub20BlockReduceAlgorithmE0EjEvPT1_S3_j, .Lfunc_end68-_Z19reduce_valid_kernelILj377ELN6hipcub20BlockReduceAlgorithmE0EjEvPT1_S3_j
                                        ; -- End function
	.set _Z19reduce_valid_kernelILj377ELN6hipcub20BlockReduceAlgorithmE0EjEvPT1_S3_j.num_vgpr, 11
	.set _Z19reduce_valid_kernelILj377ELN6hipcub20BlockReduceAlgorithmE0EjEvPT1_S3_j.num_agpr, 0
	.set _Z19reduce_valid_kernelILj377ELN6hipcub20BlockReduceAlgorithmE0EjEvPT1_S3_j.numbered_sgpr, 8
	.set _Z19reduce_valid_kernelILj377ELN6hipcub20BlockReduceAlgorithmE0EjEvPT1_S3_j.num_named_barrier, 0
	.set _Z19reduce_valid_kernelILj377ELN6hipcub20BlockReduceAlgorithmE0EjEvPT1_S3_j.private_seg_size, 0
	.set _Z19reduce_valid_kernelILj377ELN6hipcub20BlockReduceAlgorithmE0EjEvPT1_S3_j.uses_vcc, 1
	.set _Z19reduce_valid_kernelILj377ELN6hipcub20BlockReduceAlgorithmE0EjEvPT1_S3_j.uses_flat_scratch, 0
	.set _Z19reduce_valid_kernelILj377ELN6hipcub20BlockReduceAlgorithmE0EjEvPT1_S3_j.has_dyn_sized_stack, 0
	.set _Z19reduce_valid_kernelILj377ELN6hipcub20BlockReduceAlgorithmE0EjEvPT1_S3_j.has_recursion, 0
	.set _Z19reduce_valid_kernelILj377ELN6hipcub20BlockReduceAlgorithmE0EjEvPT1_S3_j.has_indirect_call, 0
	.section	.AMDGPU.csdata,"",@progbits
; Kernel info:
; codeLenInByte = 616
; TotalNumSgprs: 12
; NumVgprs: 11
; ScratchSize: 0
; MemoryBound: 0
; FloatMode: 240
; IeeeMode: 1
; LDSByteSize: 24 bytes/workgroup (compile time only)
; SGPRBlocks: 1
; VGPRBlocks: 2
; NumSGPRsForWavesPerEU: 12
; NumVGPRsForWavesPerEU: 11
; Occupancy: 10
; WaveLimiterHint : 0
; COMPUTE_PGM_RSRC2:SCRATCH_EN: 0
; COMPUTE_PGM_RSRC2:USER_SGPR: 6
; COMPUTE_PGM_RSRC2:TRAP_HANDLER: 0
; COMPUTE_PGM_RSRC2:TGID_X_EN: 1
; COMPUTE_PGM_RSRC2:TGID_Y_EN: 0
; COMPUTE_PGM_RSRC2:TGID_Z_EN: 0
; COMPUTE_PGM_RSRC2:TIDIG_COMP_CNT: 0
	.section	.text._Z19reduce_valid_kernelILj256ELN6hipcub20BlockReduceAlgorithmE0EjEvPT1_S3_j,"axG",@progbits,_Z19reduce_valid_kernelILj256ELN6hipcub20BlockReduceAlgorithmE0EjEvPT1_S3_j,comdat
	.protected	_Z19reduce_valid_kernelILj256ELN6hipcub20BlockReduceAlgorithmE0EjEvPT1_S3_j ; -- Begin function _Z19reduce_valid_kernelILj256ELN6hipcub20BlockReduceAlgorithmE0EjEvPT1_S3_j
	.globl	_Z19reduce_valid_kernelILj256ELN6hipcub20BlockReduceAlgorithmE0EjEvPT1_S3_j
	.p2align	8
	.type	_Z19reduce_valid_kernelILj256ELN6hipcub20BlockReduceAlgorithmE0EjEvPT1_S3_j,@function
_Z19reduce_valid_kernelILj256ELN6hipcub20BlockReduceAlgorithmE0EjEvPT1_S3_j: ; @_Z19reduce_valid_kernelILj256ELN6hipcub20BlockReduceAlgorithmE0EjEvPT1_S3_j
; %bb.0:
	s_load_dwordx4 s[0:3], s[4:5], 0x0
	s_load_dword s7, s[4:5], 0x10
	v_lshl_or_b32 v1, s6, 8, v0
	v_mov_b32_e32 v2, 0
	v_lshlrev_b64 v[1:2], 2, v[1:2]
	s_waitcnt lgkmcnt(0)
	v_mov_b32_e32 v3, s1
	v_add_co_u32_e32 v1, vcc, s0, v1
	v_addc_co_u32_e32 v2, vcc, v3, v2, vcc
	global_load_dword v2, v[1:2], off
	v_mbcnt_lo_u32_b32 v1, -1, 0
	v_mbcnt_hi_u32_b32 v1, -1, v1
	v_and_b32_e32 v4, 63, v1
	v_cmp_ne_u32_e32 vcc, 63, v4
	v_addc_co_u32_e32 v9, vcc, 0, v1, vcc
	v_lshlrev_b32_e32 v9, 2, v9
	v_and_b32_e32 v3, 0xc0, v0
	v_add_u32_e32 v5, 1, v1
	v_cmp_gt_u32_e32 vcc, 62, v4
	v_sub_u32_e64 v3, s7, v3 clamp
	v_cndmask_b32_e64 v10, 0, 2, vcc
	v_cmp_lt_u32_e32 vcc, v5, v3
	v_add_lshl_u32 v10, v10, v1, 2
	v_add_u32_e32 v6, 2, v1
	v_add_u32_e32 v7, 4, v1
	;; [unrolled: 1-line block ×3, first 2 shown]
	s_waitcnt vmcnt(0)
	ds_bpermute_b32 v9, v9, v2
	s_waitcnt lgkmcnt(0)
	v_cndmask_b32_e32 v5, 0, v9, vcc
	v_add_u32_e32 v2, v5, v2
	ds_bpermute_b32 v5, v10, v2
	v_cmp_gt_u32_e32 vcc, 60, v4
	v_cndmask_b32_e64 v9, 0, 4, vcc
	v_cmp_lt_u32_e32 vcc, v6, v3
	v_add_lshl_u32 v9, v9, v1, 2
	s_waitcnt lgkmcnt(0)
	v_cndmask_b32_e32 v5, 0, v5, vcc
	v_add_u32_e32 v2, v2, v5
	ds_bpermute_b32 v5, v9, v2
	v_cmp_gt_u32_e32 vcc, 56, v4
	v_cndmask_b32_e64 v6, 0, 8, vcc
	v_cmp_lt_u32_e32 vcc, v7, v3
	v_add_lshl_u32 v6, v6, v1, 2
	;; [unrolled: 8-line block ×3, first 2 shown]
	s_waitcnt lgkmcnt(0)
	v_cndmask_b32_e32 v5, 0, v5, vcc
	v_add_u32_e32 v5, v2, v5
	ds_bpermute_b32 v4, v4, v5
	v_add_u32_e32 v6, 16, v1
	v_cmp_lt_u32_e32 vcc, v6, v3
	v_lshlrev_b32_e32 v2, 2, v1
	v_or_b32_e32 v7, 0x80, v2
	s_waitcnt lgkmcnt(0)
	v_cndmask_b32_e32 v4, 0, v4, vcc
	v_add_u32_e32 v4, v5, v4
	ds_bpermute_b32 v5, v7, v4
	v_add_u32_e32 v6, 32, v1
	v_cmp_lt_u32_e32 vcc, v6, v3
	s_waitcnt lgkmcnt(0)
	v_cndmask_b32_e32 v3, 0, v5, vcc
	v_add_u32_e32 v3, v4, v3
	v_cmp_eq_u32_e32 vcc, 0, v1
	s_and_saveexec_b64 s[0:1], vcc
; %bb.1:
	v_lshrrev_b32_e32 v4, 4, v0
	v_and_b32_e32 v4, 12, v4
	ds_write_b32 v4, v3
; %bb.2:
	s_or_b64 exec, exec, s[0:1]
	v_cmp_gt_u32_e32 vcc, 4, v0
	s_waitcnt lgkmcnt(0)
	s_barrier
	s_and_saveexec_b64 s[0:1], vcc
	s_cbranch_execz .LBB69_4
; %bb.3:
	ds_read_b32 v3, v2
	v_and_b32_e32 v4, 3, v1
	v_cmp_ne_u32_e32 vcc, 3, v4
	v_addc_co_u32_e32 v1, vcc, 0, v1, vcc
	v_lshlrev_b32_e32 v1, 2, v1
	s_waitcnt lgkmcnt(0)
	ds_bpermute_b32 v1, v1, v3
	s_add_i32 s7, s7, 63
	s_lshr_b32 s4, s7, 6
	v_add_u32_e32 v5, 1, v4
	v_cmp_gt_u32_e32 vcc, s4, v5
	s_waitcnt lgkmcnt(0)
	v_cndmask_b32_e32 v1, 0, v1, vcc
	v_add_u32_e32 v1, v1, v3
	v_or_b32_e32 v2, 8, v2
	ds_bpermute_b32 v2, v2, v1
	v_add_u32_e32 v3, 2, v4
	v_cmp_gt_u32_e32 vcc, s4, v3
	s_waitcnt lgkmcnt(0)
	v_cndmask_b32_e32 v2, 0, v2, vcc
	v_add_u32_e32 v3, v1, v2
.LBB69_4:
	s_or_b64 exec, exec, s[0:1]
	s_mov_b32 s7, 0
	v_cmp_eq_u32_e32 vcc, 0, v0
	s_and_saveexec_b64 s[0:1], vcc
	s_cbranch_execz .LBB69_6
; %bb.5:
	s_lshl_b64 s[0:1], s[6:7], 2
	s_add_u32 s0, s2, s0
	s_addc_u32 s1, s3, s1
	v_mov_b32_e32 v0, 0
	global_store_dword v0, v3, s[0:1]
.LBB69_6:
	s_endpgm
	.section	.rodata,"a",@progbits
	.p2align	6, 0x0
	.amdhsa_kernel _Z19reduce_valid_kernelILj256ELN6hipcub20BlockReduceAlgorithmE0EjEvPT1_S3_j
		.amdhsa_group_segment_fixed_size 16
		.amdhsa_private_segment_fixed_size 0
		.amdhsa_kernarg_size 20
		.amdhsa_user_sgpr_count 6
		.amdhsa_user_sgpr_private_segment_buffer 1
		.amdhsa_user_sgpr_dispatch_ptr 0
		.amdhsa_user_sgpr_queue_ptr 0
		.amdhsa_user_sgpr_kernarg_segment_ptr 1
		.amdhsa_user_sgpr_dispatch_id 0
		.amdhsa_user_sgpr_flat_scratch_init 0
		.amdhsa_user_sgpr_private_segment_size 0
		.amdhsa_uses_dynamic_stack 0
		.amdhsa_system_sgpr_private_segment_wavefront_offset 0
		.amdhsa_system_sgpr_workgroup_id_x 1
		.amdhsa_system_sgpr_workgroup_id_y 0
		.amdhsa_system_sgpr_workgroup_id_z 0
		.amdhsa_system_sgpr_workgroup_info 0
		.amdhsa_system_vgpr_workitem_id 0
		.amdhsa_next_free_vgpr 11
		.amdhsa_next_free_sgpr 8
		.amdhsa_reserve_vcc 1
		.amdhsa_reserve_flat_scratch 0
		.amdhsa_float_round_mode_32 0
		.amdhsa_float_round_mode_16_64 0
		.amdhsa_float_denorm_mode_32 3
		.amdhsa_float_denorm_mode_16_64 3
		.amdhsa_dx10_clamp 1
		.amdhsa_ieee_mode 1
		.amdhsa_fp16_overflow 0
		.amdhsa_exception_fp_ieee_invalid_op 0
		.amdhsa_exception_fp_denorm_src 0
		.amdhsa_exception_fp_ieee_div_zero 0
		.amdhsa_exception_fp_ieee_overflow 0
		.amdhsa_exception_fp_ieee_underflow 0
		.amdhsa_exception_fp_ieee_inexact 0
		.amdhsa_exception_int_div_zero 0
	.end_amdhsa_kernel
	.section	.text._Z19reduce_valid_kernelILj256ELN6hipcub20BlockReduceAlgorithmE0EjEvPT1_S3_j,"axG",@progbits,_Z19reduce_valid_kernelILj256ELN6hipcub20BlockReduceAlgorithmE0EjEvPT1_S3_j,comdat
.Lfunc_end69:
	.size	_Z19reduce_valid_kernelILj256ELN6hipcub20BlockReduceAlgorithmE0EjEvPT1_S3_j, .Lfunc_end69-_Z19reduce_valid_kernelILj256ELN6hipcub20BlockReduceAlgorithmE0EjEvPT1_S3_j
                                        ; -- End function
	.set _Z19reduce_valid_kernelILj256ELN6hipcub20BlockReduceAlgorithmE0EjEvPT1_S3_j.num_vgpr, 11
	.set _Z19reduce_valid_kernelILj256ELN6hipcub20BlockReduceAlgorithmE0EjEvPT1_S3_j.num_agpr, 0
	.set _Z19reduce_valid_kernelILj256ELN6hipcub20BlockReduceAlgorithmE0EjEvPT1_S3_j.numbered_sgpr, 8
	.set _Z19reduce_valid_kernelILj256ELN6hipcub20BlockReduceAlgorithmE0EjEvPT1_S3_j.num_named_barrier, 0
	.set _Z19reduce_valid_kernelILj256ELN6hipcub20BlockReduceAlgorithmE0EjEvPT1_S3_j.private_seg_size, 0
	.set _Z19reduce_valid_kernelILj256ELN6hipcub20BlockReduceAlgorithmE0EjEvPT1_S3_j.uses_vcc, 1
	.set _Z19reduce_valid_kernelILj256ELN6hipcub20BlockReduceAlgorithmE0EjEvPT1_S3_j.uses_flat_scratch, 0
	.set _Z19reduce_valid_kernelILj256ELN6hipcub20BlockReduceAlgorithmE0EjEvPT1_S3_j.has_dyn_sized_stack, 0
	.set _Z19reduce_valid_kernelILj256ELN6hipcub20BlockReduceAlgorithmE0EjEvPT1_S3_j.has_recursion, 0
	.set _Z19reduce_valid_kernelILj256ELN6hipcub20BlockReduceAlgorithmE0EjEvPT1_S3_j.has_indirect_call, 0
	.section	.AMDGPU.csdata,"",@progbits
; Kernel info:
; codeLenInByte = 564
; TotalNumSgprs: 12
; NumVgprs: 11
; ScratchSize: 0
; MemoryBound: 0
; FloatMode: 240
; IeeeMode: 1
; LDSByteSize: 16 bytes/workgroup (compile time only)
; SGPRBlocks: 1
; VGPRBlocks: 2
; NumSGPRsForWavesPerEU: 12
; NumVGPRsForWavesPerEU: 11
; Occupancy: 10
; WaveLimiterHint : 0
; COMPUTE_PGM_RSRC2:SCRATCH_EN: 0
; COMPUTE_PGM_RSRC2:USER_SGPR: 6
; COMPUTE_PGM_RSRC2:TRAP_HANDLER: 0
; COMPUTE_PGM_RSRC2:TGID_X_EN: 1
; COMPUTE_PGM_RSRC2:TGID_Y_EN: 0
; COMPUTE_PGM_RSRC2:TGID_Z_EN: 0
; COMPUTE_PGM_RSRC2:TIDIG_COMP_CNT: 0
	.section	.text._Z19reduce_valid_kernelILj64ELN6hipcub20BlockReduceAlgorithmE0EjEvPT1_S3_j,"axG",@progbits,_Z19reduce_valid_kernelILj64ELN6hipcub20BlockReduceAlgorithmE0EjEvPT1_S3_j,comdat
	.protected	_Z19reduce_valid_kernelILj64ELN6hipcub20BlockReduceAlgorithmE0EjEvPT1_S3_j ; -- Begin function _Z19reduce_valid_kernelILj64ELN6hipcub20BlockReduceAlgorithmE0EjEvPT1_S3_j
	.globl	_Z19reduce_valid_kernelILj64ELN6hipcub20BlockReduceAlgorithmE0EjEvPT1_S3_j
	.p2align	8
	.type	_Z19reduce_valid_kernelILj64ELN6hipcub20BlockReduceAlgorithmE0EjEvPT1_S3_j,@function
_Z19reduce_valid_kernelILj64ELN6hipcub20BlockReduceAlgorithmE0EjEvPT1_S3_j: ; @_Z19reduce_valid_kernelILj64ELN6hipcub20BlockReduceAlgorithmE0EjEvPT1_S3_j
; %bb.0:
	s_load_dwordx4 s[0:3], s[4:5], 0x0
	s_load_dword s8, s[4:5], 0x10
	v_lshl_or_b32 v1, s6, 6, v0
	v_mov_b32_e32 v2, 0
	v_lshlrev_b64 v[3:4], 2, v[1:2]
	s_waitcnt lgkmcnt(0)
	v_mov_b32_e32 v1, s1
	v_add_co_u32_e32 v3, vcc, s0, v3
	v_addc_co_u32_e32 v4, vcc, v1, v4, vcc
	global_load_dword v3, v[3:4], off
	v_mbcnt_lo_u32_b32 v1, -1, 0
	v_mbcnt_hi_u32_b32 v1, -1, v1
	v_and_b32_e32 v4, 63, v1
	v_cmp_ne_u32_e32 vcc, 63, v4
	v_addc_co_u32_e32 v9, vcc, 0, v1, vcc
	v_lshlrev_b32_e32 v9, 2, v9
	v_add_u32_e32 v5, 1, v1
	v_cmp_gt_u32_e32 vcc, 62, v4
	v_cndmask_b32_e64 v10, 0, 2, vcc
	v_cmp_gt_u32_e32 vcc, s8, v5
	v_add_lshl_u32 v10, v10, v1, 2
	v_add_u32_e32 v6, 2, v1
	v_add_u32_e32 v7, 4, v1
	;; [unrolled: 1-line block ×3, first 2 shown]
	s_mov_b32 s7, 0
	s_waitcnt vmcnt(0)
	ds_bpermute_b32 v9, v9, v3
	s_waitcnt lgkmcnt(0)
	v_cndmask_b32_e32 v5, 0, v9, vcc
	v_add_u32_e32 v3, v5, v3
	ds_bpermute_b32 v5, v10, v3
	v_cmp_gt_u32_e32 vcc, 60, v4
	v_cndmask_b32_e64 v9, 0, 4, vcc
	v_cmp_gt_u32_e32 vcc, s8, v6
	v_add_lshl_u32 v9, v9, v1, 2
	s_waitcnt lgkmcnt(0)
	v_cndmask_b32_e32 v5, 0, v5, vcc
	v_add_u32_e32 v3, v3, v5
	ds_bpermute_b32 v5, v9, v3
	v_cmp_gt_u32_e32 vcc, 56, v4
	v_cndmask_b32_e64 v6, 0, 8, vcc
	v_cmp_gt_u32_e32 vcc, s8, v7
	v_add_lshl_u32 v6, v6, v1, 2
	;; [unrolled: 8-line block ×3, first 2 shown]
	s_waitcnt lgkmcnt(0)
	v_cndmask_b32_e32 v5, 0, v5, vcc
	v_add_u32_e32 v3, v3, v5
	ds_bpermute_b32 v4, v4, v3
	v_add_u32_e32 v6, 16, v1
	v_cmp_gt_u32_e32 vcc, s8, v6
	v_mov_b32_e32 v5, 0x80
	s_waitcnt lgkmcnt(0)
	v_cndmask_b32_e32 v4, 0, v4, vcc
	v_add_u32_e32 v3, v3, v4
	v_lshl_or_b32 v4, v1, 2, v5
	ds_bpermute_b32 v4, v4, v3
	v_cmp_eq_u32_e32 vcc, 0, v0
	s_and_saveexec_b64 s[0:1], vcc
	s_cbranch_execz .LBB70_2
; %bb.1:
	v_add_u32_e32 v0, 32, v1
	s_lshl_b64 s[0:1], s[6:7], 2
	v_cmp_gt_u32_e32 vcc, s8, v0
	s_add_u32 s0, s2, s0
	s_waitcnt lgkmcnt(0)
	v_cndmask_b32_e32 v0, 0, v4, vcc
	s_addc_u32 s1, s3, s1
	v_add_u32_e32 v0, v3, v0
	global_store_dword v2, v0, s[0:1]
.LBB70_2:
	s_endpgm
	.section	.rodata,"a",@progbits
	.p2align	6, 0x0
	.amdhsa_kernel _Z19reduce_valid_kernelILj64ELN6hipcub20BlockReduceAlgorithmE0EjEvPT1_S3_j
		.amdhsa_group_segment_fixed_size 0
		.amdhsa_private_segment_fixed_size 0
		.amdhsa_kernarg_size 20
		.amdhsa_user_sgpr_count 6
		.amdhsa_user_sgpr_private_segment_buffer 1
		.amdhsa_user_sgpr_dispatch_ptr 0
		.amdhsa_user_sgpr_queue_ptr 0
		.amdhsa_user_sgpr_kernarg_segment_ptr 1
		.amdhsa_user_sgpr_dispatch_id 0
		.amdhsa_user_sgpr_flat_scratch_init 0
		.amdhsa_user_sgpr_private_segment_size 0
		.amdhsa_uses_dynamic_stack 0
		.amdhsa_system_sgpr_private_segment_wavefront_offset 0
		.amdhsa_system_sgpr_workgroup_id_x 1
		.amdhsa_system_sgpr_workgroup_id_y 0
		.amdhsa_system_sgpr_workgroup_id_z 0
		.amdhsa_system_sgpr_workgroup_info 0
		.amdhsa_system_vgpr_workitem_id 0
		.amdhsa_next_free_vgpr 11
		.amdhsa_next_free_sgpr 9
		.amdhsa_reserve_vcc 1
		.amdhsa_reserve_flat_scratch 0
		.amdhsa_float_round_mode_32 0
		.amdhsa_float_round_mode_16_64 0
		.amdhsa_float_denorm_mode_32 3
		.amdhsa_float_denorm_mode_16_64 3
		.amdhsa_dx10_clamp 1
		.amdhsa_ieee_mode 1
		.amdhsa_fp16_overflow 0
		.amdhsa_exception_fp_ieee_invalid_op 0
		.amdhsa_exception_fp_denorm_src 0
		.amdhsa_exception_fp_ieee_div_zero 0
		.amdhsa_exception_fp_ieee_overflow 0
		.amdhsa_exception_fp_ieee_underflow 0
		.amdhsa_exception_fp_ieee_inexact 0
		.amdhsa_exception_int_div_zero 0
	.end_amdhsa_kernel
	.section	.text._Z19reduce_valid_kernelILj64ELN6hipcub20BlockReduceAlgorithmE0EjEvPT1_S3_j,"axG",@progbits,_Z19reduce_valid_kernelILj64ELN6hipcub20BlockReduceAlgorithmE0EjEvPT1_S3_j,comdat
.Lfunc_end70:
	.size	_Z19reduce_valid_kernelILj64ELN6hipcub20BlockReduceAlgorithmE0EjEvPT1_S3_j, .Lfunc_end70-_Z19reduce_valid_kernelILj64ELN6hipcub20BlockReduceAlgorithmE0EjEvPT1_S3_j
                                        ; -- End function
	.set _Z19reduce_valid_kernelILj64ELN6hipcub20BlockReduceAlgorithmE0EjEvPT1_S3_j.num_vgpr, 11
	.set _Z19reduce_valid_kernelILj64ELN6hipcub20BlockReduceAlgorithmE0EjEvPT1_S3_j.num_agpr, 0
	.set _Z19reduce_valid_kernelILj64ELN6hipcub20BlockReduceAlgorithmE0EjEvPT1_S3_j.numbered_sgpr, 9
	.set _Z19reduce_valid_kernelILj64ELN6hipcub20BlockReduceAlgorithmE0EjEvPT1_S3_j.num_named_barrier, 0
	.set _Z19reduce_valid_kernelILj64ELN6hipcub20BlockReduceAlgorithmE0EjEvPT1_S3_j.private_seg_size, 0
	.set _Z19reduce_valid_kernelILj64ELN6hipcub20BlockReduceAlgorithmE0EjEvPT1_S3_j.uses_vcc, 1
	.set _Z19reduce_valid_kernelILj64ELN6hipcub20BlockReduceAlgorithmE0EjEvPT1_S3_j.uses_flat_scratch, 0
	.set _Z19reduce_valid_kernelILj64ELN6hipcub20BlockReduceAlgorithmE0EjEvPT1_S3_j.has_dyn_sized_stack, 0
	.set _Z19reduce_valid_kernelILj64ELN6hipcub20BlockReduceAlgorithmE0EjEvPT1_S3_j.has_recursion, 0
	.set _Z19reduce_valid_kernelILj64ELN6hipcub20BlockReduceAlgorithmE0EjEvPT1_S3_j.has_indirect_call, 0
	.section	.AMDGPU.csdata,"",@progbits
; Kernel info:
; codeLenInByte = 400
; TotalNumSgprs: 13
; NumVgprs: 11
; ScratchSize: 0
; MemoryBound: 0
; FloatMode: 240
; IeeeMode: 1
; LDSByteSize: 0 bytes/workgroup (compile time only)
; SGPRBlocks: 1
; VGPRBlocks: 2
; NumSGPRsForWavesPerEU: 13
; NumVGPRsForWavesPerEU: 11
; Occupancy: 10
; WaveLimiterHint : 0
; COMPUTE_PGM_RSRC2:SCRATCH_EN: 0
; COMPUTE_PGM_RSRC2:USER_SGPR: 6
; COMPUTE_PGM_RSRC2:TRAP_HANDLER: 0
; COMPUTE_PGM_RSRC2:TGID_X_EN: 1
; COMPUTE_PGM_RSRC2:TGID_Y_EN: 0
; COMPUTE_PGM_RSRC2:TGID_Z_EN: 0
; COMPUTE_PGM_RSRC2:TIDIG_COMP_CNT: 0
	.section	.text._Z19reduce_valid_kernelILj255ELN6hipcub20BlockReduceAlgorithmE0EiEvPT1_S3_j,"axG",@progbits,_Z19reduce_valid_kernelILj255ELN6hipcub20BlockReduceAlgorithmE0EiEvPT1_S3_j,comdat
	.protected	_Z19reduce_valid_kernelILj255ELN6hipcub20BlockReduceAlgorithmE0EiEvPT1_S3_j ; -- Begin function _Z19reduce_valid_kernelILj255ELN6hipcub20BlockReduceAlgorithmE0EiEvPT1_S3_j
	.globl	_Z19reduce_valid_kernelILj255ELN6hipcub20BlockReduceAlgorithmE0EiEvPT1_S3_j
	.p2align	8
	.type	_Z19reduce_valid_kernelILj255ELN6hipcub20BlockReduceAlgorithmE0EiEvPT1_S3_j,@function
_Z19reduce_valid_kernelILj255ELN6hipcub20BlockReduceAlgorithmE0EiEvPT1_S3_j: ; @_Z19reduce_valid_kernelILj255ELN6hipcub20BlockReduceAlgorithmE0EiEvPT1_S3_j
; %bb.0:
	s_load_dwordx4 s[0:3], s[4:5], 0x0
	s_load_dword s7, s[4:5], 0x10
	s_mul_i32 s4, s6, 0xff
	v_add_u32_e32 v1, s4, v0
	v_mov_b32_e32 v2, 0
	v_lshlrev_b64 v[1:2], 2, v[1:2]
	s_waitcnt lgkmcnt(0)
	v_mov_b32_e32 v3, s1
	v_add_co_u32_e32 v1, vcc, s0, v1
	v_addc_co_u32_e32 v2, vcc, v3, v2, vcc
	global_load_dword v2, v[1:2], off
	v_mbcnt_lo_u32_b32 v1, -1, 0
	v_mbcnt_hi_u32_b32 v1, -1, v1
	v_and_b32_e32 v4, 63, v1
	v_cmp_ne_u32_e32 vcc, 63, v4
	v_addc_co_u32_e32 v9, vcc, 0, v1, vcc
	v_lshlrev_b32_e32 v9, 2, v9
	v_and_b32_e32 v3, 0xc0, v0
	v_add_u32_e32 v5, 1, v1
	v_cmp_gt_u32_e32 vcc, 62, v4
	v_sub_u32_e64 v3, s7, v3 clamp
	v_cndmask_b32_e64 v10, 0, 2, vcc
	v_cmp_lt_u32_e32 vcc, v5, v3
	v_add_lshl_u32 v10, v10, v1, 2
	v_add_u32_e32 v6, 2, v1
	v_add_u32_e32 v7, 4, v1
	;; [unrolled: 1-line block ×3, first 2 shown]
	s_waitcnt vmcnt(0)
	ds_bpermute_b32 v9, v9, v2
	s_waitcnt lgkmcnt(0)
	v_cndmask_b32_e32 v5, 0, v9, vcc
	v_add_u32_e32 v2, v5, v2
	ds_bpermute_b32 v5, v10, v2
	v_cmp_gt_u32_e32 vcc, 60, v4
	v_cndmask_b32_e64 v9, 0, 4, vcc
	v_cmp_lt_u32_e32 vcc, v6, v3
	v_add_lshl_u32 v9, v9, v1, 2
	s_waitcnt lgkmcnt(0)
	v_cndmask_b32_e32 v5, 0, v5, vcc
	v_add_u32_e32 v2, v2, v5
	ds_bpermute_b32 v5, v9, v2
	v_cmp_gt_u32_e32 vcc, 56, v4
	v_cndmask_b32_e64 v6, 0, 8, vcc
	v_cmp_lt_u32_e32 vcc, v7, v3
	v_add_lshl_u32 v6, v6, v1, 2
	;; [unrolled: 8-line block ×3, first 2 shown]
	s_waitcnt lgkmcnt(0)
	v_cndmask_b32_e32 v5, 0, v5, vcc
	v_add_u32_e32 v5, v2, v5
	ds_bpermute_b32 v4, v4, v5
	v_add_u32_e32 v6, 16, v1
	v_cmp_lt_u32_e32 vcc, v6, v3
	v_lshlrev_b32_e32 v2, 2, v1
	v_or_b32_e32 v7, 0x80, v2
	s_waitcnt lgkmcnt(0)
	v_cndmask_b32_e32 v4, 0, v4, vcc
	v_add_u32_e32 v4, v5, v4
	ds_bpermute_b32 v5, v7, v4
	v_add_u32_e32 v6, 32, v1
	v_cmp_lt_u32_e32 vcc, v6, v3
	s_waitcnt lgkmcnt(0)
	v_cndmask_b32_e32 v3, 0, v5, vcc
	v_add_u32_e32 v3, v4, v3
	v_cmp_eq_u32_e32 vcc, 0, v1
	s_and_saveexec_b64 s[0:1], vcc
; %bb.1:
	v_lshrrev_b32_e32 v4, 4, v0
	v_and_b32_e32 v4, 12, v4
	ds_write_b32 v4, v3
; %bb.2:
	s_or_b64 exec, exec, s[0:1]
	v_cmp_gt_u32_e32 vcc, 4, v0
	s_waitcnt lgkmcnt(0)
	s_barrier
	s_and_saveexec_b64 s[0:1], vcc
	s_cbranch_execz .LBB71_4
; %bb.3:
	ds_read_b32 v3, v2
	v_and_b32_e32 v4, 3, v1
	v_cmp_ne_u32_e32 vcc, 3, v4
	v_addc_co_u32_e32 v1, vcc, 0, v1, vcc
	v_lshlrev_b32_e32 v1, 2, v1
	s_waitcnt lgkmcnt(0)
	ds_bpermute_b32 v1, v1, v3
	s_add_i32 s7, s7, 63
	s_lshr_b32 s4, s7, 6
	v_add_u32_e32 v5, 1, v4
	v_cmp_gt_u32_e32 vcc, s4, v5
	s_waitcnt lgkmcnt(0)
	v_cndmask_b32_e32 v1, 0, v1, vcc
	v_add_u32_e32 v1, v1, v3
	v_or_b32_e32 v2, 8, v2
	ds_bpermute_b32 v2, v2, v1
	v_add_u32_e32 v3, 2, v4
	v_cmp_gt_u32_e32 vcc, s4, v3
	s_waitcnt lgkmcnt(0)
	v_cndmask_b32_e32 v2, 0, v2, vcc
	v_add_u32_e32 v3, v1, v2
.LBB71_4:
	s_or_b64 exec, exec, s[0:1]
	s_mov_b32 s7, 0
	v_cmp_eq_u32_e32 vcc, 0, v0
	s_and_saveexec_b64 s[0:1], vcc
	s_cbranch_execz .LBB71_6
; %bb.5:
	s_lshl_b64 s[0:1], s[6:7], 2
	s_add_u32 s0, s2, s0
	s_addc_u32 s1, s3, s1
	v_mov_b32_e32 v0, 0
	global_store_dword v0, v3, s[0:1]
.LBB71_6:
	s_endpgm
	.section	.rodata,"a",@progbits
	.p2align	6, 0x0
	.amdhsa_kernel _Z19reduce_valid_kernelILj255ELN6hipcub20BlockReduceAlgorithmE0EiEvPT1_S3_j
		.amdhsa_group_segment_fixed_size 16
		.amdhsa_private_segment_fixed_size 0
		.amdhsa_kernarg_size 20
		.amdhsa_user_sgpr_count 6
		.amdhsa_user_sgpr_private_segment_buffer 1
		.amdhsa_user_sgpr_dispatch_ptr 0
		.amdhsa_user_sgpr_queue_ptr 0
		.amdhsa_user_sgpr_kernarg_segment_ptr 1
		.amdhsa_user_sgpr_dispatch_id 0
		.amdhsa_user_sgpr_flat_scratch_init 0
		.amdhsa_user_sgpr_private_segment_size 0
		.amdhsa_uses_dynamic_stack 0
		.amdhsa_system_sgpr_private_segment_wavefront_offset 0
		.amdhsa_system_sgpr_workgroup_id_x 1
		.amdhsa_system_sgpr_workgroup_id_y 0
		.amdhsa_system_sgpr_workgroup_id_z 0
		.amdhsa_system_sgpr_workgroup_info 0
		.amdhsa_system_vgpr_workitem_id 0
		.amdhsa_next_free_vgpr 11
		.amdhsa_next_free_sgpr 8
		.amdhsa_reserve_vcc 1
		.amdhsa_reserve_flat_scratch 0
		.amdhsa_float_round_mode_32 0
		.amdhsa_float_round_mode_16_64 0
		.amdhsa_float_denorm_mode_32 3
		.amdhsa_float_denorm_mode_16_64 3
		.amdhsa_dx10_clamp 1
		.amdhsa_ieee_mode 1
		.amdhsa_fp16_overflow 0
		.amdhsa_exception_fp_ieee_invalid_op 0
		.amdhsa_exception_fp_denorm_src 0
		.amdhsa_exception_fp_ieee_div_zero 0
		.amdhsa_exception_fp_ieee_overflow 0
		.amdhsa_exception_fp_ieee_underflow 0
		.amdhsa_exception_fp_ieee_inexact 0
		.amdhsa_exception_int_div_zero 0
	.end_amdhsa_kernel
	.section	.text._Z19reduce_valid_kernelILj255ELN6hipcub20BlockReduceAlgorithmE0EiEvPT1_S3_j,"axG",@progbits,_Z19reduce_valid_kernelILj255ELN6hipcub20BlockReduceAlgorithmE0EiEvPT1_S3_j,comdat
.Lfunc_end71:
	.size	_Z19reduce_valid_kernelILj255ELN6hipcub20BlockReduceAlgorithmE0EiEvPT1_S3_j, .Lfunc_end71-_Z19reduce_valid_kernelILj255ELN6hipcub20BlockReduceAlgorithmE0EiEvPT1_S3_j
                                        ; -- End function
	.set _Z19reduce_valid_kernelILj255ELN6hipcub20BlockReduceAlgorithmE0EiEvPT1_S3_j.num_vgpr, 11
	.set _Z19reduce_valid_kernelILj255ELN6hipcub20BlockReduceAlgorithmE0EiEvPT1_S3_j.num_agpr, 0
	.set _Z19reduce_valid_kernelILj255ELN6hipcub20BlockReduceAlgorithmE0EiEvPT1_S3_j.numbered_sgpr, 8
	.set _Z19reduce_valid_kernelILj255ELN6hipcub20BlockReduceAlgorithmE0EiEvPT1_S3_j.num_named_barrier, 0
	.set _Z19reduce_valid_kernelILj255ELN6hipcub20BlockReduceAlgorithmE0EiEvPT1_S3_j.private_seg_size, 0
	.set _Z19reduce_valid_kernelILj255ELN6hipcub20BlockReduceAlgorithmE0EiEvPT1_S3_j.uses_vcc, 1
	.set _Z19reduce_valid_kernelILj255ELN6hipcub20BlockReduceAlgorithmE0EiEvPT1_S3_j.uses_flat_scratch, 0
	.set _Z19reduce_valid_kernelILj255ELN6hipcub20BlockReduceAlgorithmE0EiEvPT1_S3_j.has_dyn_sized_stack, 0
	.set _Z19reduce_valid_kernelILj255ELN6hipcub20BlockReduceAlgorithmE0EiEvPT1_S3_j.has_recursion, 0
	.set _Z19reduce_valid_kernelILj255ELN6hipcub20BlockReduceAlgorithmE0EiEvPT1_S3_j.has_indirect_call, 0
	.section	.AMDGPU.csdata,"",@progbits
; Kernel info:
; codeLenInByte = 568
; TotalNumSgprs: 12
; NumVgprs: 11
; ScratchSize: 0
; MemoryBound: 0
; FloatMode: 240
; IeeeMode: 1
; LDSByteSize: 16 bytes/workgroup (compile time only)
; SGPRBlocks: 1
; VGPRBlocks: 2
; NumSGPRsForWavesPerEU: 12
; NumVGPRsForWavesPerEU: 11
; Occupancy: 10
; WaveLimiterHint : 0
; COMPUTE_PGM_RSRC2:SCRATCH_EN: 0
; COMPUTE_PGM_RSRC2:USER_SGPR: 6
; COMPUTE_PGM_RSRC2:TRAP_HANDLER: 0
; COMPUTE_PGM_RSRC2:TGID_X_EN: 1
; COMPUTE_PGM_RSRC2:TGID_Y_EN: 0
; COMPUTE_PGM_RSRC2:TGID_Z_EN: 0
; COMPUTE_PGM_RSRC2:TIDIG_COMP_CNT: 0
	.section	.text._Z19reduce_valid_kernelILj162ELN6hipcub20BlockReduceAlgorithmE0EiEvPT1_S3_j,"axG",@progbits,_Z19reduce_valid_kernelILj162ELN6hipcub20BlockReduceAlgorithmE0EiEvPT1_S3_j,comdat
	.protected	_Z19reduce_valid_kernelILj162ELN6hipcub20BlockReduceAlgorithmE0EiEvPT1_S3_j ; -- Begin function _Z19reduce_valid_kernelILj162ELN6hipcub20BlockReduceAlgorithmE0EiEvPT1_S3_j
	.globl	_Z19reduce_valid_kernelILj162ELN6hipcub20BlockReduceAlgorithmE0EiEvPT1_S3_j
	.p2align	8
	.type	_Z19reduce_valid_kernelILj162ELN6hipcub20BlockReduceAlgorithmE0EiEvPT1_S3_j,@function
_Z19reduce_valid_kernelILj162ELN6hipcub20BlockReduceAlgorithmE0EiEvPT1_S3_j: ; @_Z19reduce_valid_kernelILj162ELN6hipcub20BlockReduceAlgorithmE0EiEvPT1_S3_j
; %bb.0:
	s_load_dwordx4 s[0:3], s[4:5], 0x0
	s_load_dword s7, s[4:5], 0x10
	s_mul_i32 s4, s6, 0xa2
	v_add_u32_e32 v1, s4, v0
	v_mov_b32_e32 v2, 0
	v_lshlrev_b64 v[1:2], 2, v[1:2]
	s_waitcnt lgkmcnt(0)
	v_mov_b32_e32 v3, s1
	v_add_co_u32_e32 v1, vcc, s0, v1
	v_addc_co_u32_e32 v2, vcc, v3, v2, vcc
	global_load_dword v2, v[1:2], off
	v_mbcnt_lo_u32_b32 v1, -1, 0
	v_mbcnt_hi_u32_b32 v1, -1, v1
	v_and_b32_e32 v4, 63, v1
	v_cmp_ne_u32_e32 vcc, 63, v4
	v_addc_co_u32_e32 v9, vcc, 0, v1, vcc
	v_lshlrev_b32_e32 v9, 2, v9
	v_and_b32_e32 v3, 0xc0, v0
	v_add_u32_e32 v5, 1, v1
	v_cmp_gt_u32_e32 vcc, 62, v4
	v_sub_u32_e64 v3, s7, v3 clamp
	v_cndmask_b32_e64 v10, 0, 2, vcc
	v_cmp_lt_u32_e32 vcc, v5, v3
	v_add_lshl_u32 v10, v10, v1, 2
	v_add_u32_e32 v6, 2, v1
	v_add_u32_e32 v7, 4, v1
	;; [unrolled: 1-line block ×3, first 2 shown]
	s_waitcnt vmcnt(0)
	ds_bpermute_b32 v9, v9, v2
	s_waitcnt lgkmcnt(0)
	v_cndmask_b32_e32 v5, 0, v9, vcc
	v_add_u32_e32 v2, v5, v2
	ds_bpermute_b32 v5, v10, v2
	v_cmp_gt_u32_e32 vcc, 60, v4
	v_cndmask_b32_e64 v9, 0, 4, vcc
	v_cmp_lt_u32_e32 vcc, v6, v3
	v_add_lshl_u32 v9, v9, v1, 2
	s_waitcnt lgkmcnt(0)
	v_cndmask_b32_e32 v5, 0, v5, vcc
	v_add_u32_e32 v2, v2, v5
	ds_bpermute_b32 v5, v9, v2
	v_cmp_gt_u32_e32 vcc, 56, v4
	v_cndmask_b32_e64 v6, 0, 8, vcc
	v_cmp_lt_u32_e32 vcc, v7, v3
	v_add_lshl_u32 v6, v6, v1, 2
	;; [unrolled: 8-line block ×3, first 2 shown]
	s_waitcnt lgkmcnt(0)
	v_cndmask_b32_e32 v5, 0, v5, vcc
	v_add_u32_e32 v5, v2, v5
	ds_bpermute_b32 v4, v4, v5
	v_add_u32_e32 v6, 16, v1
	v_cmp_lt_u32_e32 vcc, v6, v3
	v_lshlrev_b32_e32 v2, 2, v1
	v_or_b32_e32 v7, 0x80, v2
	s_waitcnt lgkmcnt(0)
	v_cndmask_b32_e32 v4, 0, v4, vcc
	v_add_u32_e32 v4, v5, v4
	ds_bpermute_b32 v5, v7, v4
	v_add_u32_e32 v6, 32, v1
	v_cmp_lt_u32_e32 vcc, v6, v3
	s_waitcnt lgkmcnt(0)
	v_cndmask_b32_e32 v3, 0, v5, vcc
	v_add_u32_e32 v3, v4, v3
	v_cmp_eq_u32_e32 vcc, 0, v1
	s_and_saveexec_b64 s[0:1], vcc
; %bb.1:
	v_lshrrev_b32_e32 v4, 4, v0
	v_and_b32_e32 v4, 12, v4
	ds_write_b32 v4, v3
; %bb.2:
	s_or_b64 exec, exec, s[0:1]
	v_cmp_gt_u32_e32 vcc, 3, v0
	s_waitcnt lgkmcnt(0)
	s_barrier
	s_and_saveexec_b64 s[0:1], vcc
	s_cbranch_execz .LBB72_4
; %bb.3:
	ds_read_b32 v3, v2
	v_and_b32_e32 v4, 3, v1
	v_cmp_ne_u32_e32 vcc, 3, v4
	v_addc_co_u32_e32 v1, vcc, 0, v1, vcc
	v_lshlrev_b32_e32 v1, 2, v1
	s_waitcnt lgkmcnt(0)
	ds_bpermute_b32 v1, v1, v3
	s_add_i32 s7, s7, 63
	s_lshr_b32 s4, s7, 6
	v_add_u32_e32 v5, 1, v4
	v_cmp_gt_u32_e32 vcc, s4, v5
	s_waitcnt lgkmcnt(0)
	v_cndmask_b32_e32 v1, 0, v1, vcc
	v_add_u32_e32 v1, v1, v3
	v_or_b32_e32 v2, 8, v2
	ds_bpermute_b32 v2, v2, v1
	v_add_u32_e32 v3, 2, v4
	v_cmp_gt_u32_e32 vcc, s4, v3
	s_waitcnt lgkmcnt(0)
	v_cndmask_b32_e32 v2, 0, v2, vcc
	v_add_u32_e32 v3, v1, v2
.LBB72_4:
	s_or_b64 exec, exec, s[0:1]
	s_mov_b32 s7, 0
	v_cmp_eq_u32_e32 vcc, 0, v0
	s_and_saveexec_b64 s[0:1], vcc
	s_cbranch_execz .LBB72_6
; %bb.5:
	s_lshl_b64 s[0:1], s[6:7], 2
	s_add_u32 s0, s2, s0
	s_addc_u32 s1, s3, s1
	v_mov_b32_e32 v0, 0
	global_store_dword v0, v3, s[0:1]
.LBB72_6:
	s_endpgm
	.section	.rodata,"a",@progbits
	.p2align	6, 0x0
	.amdhsa_kernel _Z19reduce_valid_kernelILj162ELN6hipcub20BlockReduceAlgorithmE0EiEvPT1_S3_j
		.amdhsa_group_segment_fixed_size 12
		.amdhsa_private_segment_fixed_size 0
		.amdhsa_kernarg_size 20
		.amdhsa_user_sgpr_count 6
		.amdhsa_user_sgpr_private_segment_buffer 1
		.amdhsa_user_sgpr_dispatch_ptr 0
		.amdhsa_user_sgpr_queue_ptr 0
		.amdhsa_user_sgpr_kernarg_segment_ptr 1
		.amdhsa_user_sgpr_dispatch_id 0
		.amdhsa_user_sgpr_flat_scratch_init 0
		.amdhsa_user_sgpr_private_segment_size 0
		.amdhsa_uses_dynamic_stack 0
		.amdhsa_system_sgpr_private_segment_wavefront_offset 0
		.amdhsa_system_sgpr_workgroup_id_x 1
		.amdhsa_system_sgpr_workgroup_id_y 0
		.amdhsa_system_sgpr_workgroup_id_z 0
		.amdhsa_system_sgpr_workgroup_info 0
		.amdhsa_system_vgpr_workitem_id 0
		.amdhsa_next_free_vgpr 11
		.amdhsa_next_free_sgpr 8
		.amdhsa_reserve_vcc 1
		.amdhsa_reserve_flat_scratch 0
		.amdhsa_float_round_mode_32 0
		.amdhsa_float_round_mode_16_64 0
		.amdhsa_float_denorm_mode_32 3
		.amdhsa_float_denorm_mode_16_64 3
		.amdhsa_dx10_clamp 1
		.amdhsa_ieee_mode 1
		.amdhsa_fp16_overflow 0
		.amdhsa_exception_fp_ieee_invalid_op 0
		.amdhsa_exception_fp_denorm_src 0
		.amdhsa_exception_fp_ieee_div_zero 0
		.amdhsa_exception_fp_ieee_overflow 0
		.amdhsa_exception_fp_ieee_underflow 0
		.amdhsa_exception_fp_ieee_inexact 0
		.amdhsa_exception_int_div_zero 0
	.end_amdhsa_kernel
	.section	.text._Z19reduce_valid_kernelILj162ELN6hipcub20BlockReduceAlgorithmE0EiEvPT1_S3_j,"axG",@progbits,_Z19reduce_valid_kernelILj162ELN6hipcub20BlockReduceAlgorithmE0EiEvPT1_S3_j,comdat
.Lfunc_end72:
	.size	_Z19reduce_valid_kernelILj162ELN6hipcub20BlockReduceAlgorithmE0EiEvPT1_S3_j, .Lfunc_end72-_Z19reduce_valid_kernelILj162ELN6hipcub20BlockReduceAlgorithmE0EiEvPT1_S3_j
                                        ; -- End function
	.set _Z19reduce_valid_kernelILj162ELN6hipcub20BlockReduceAlgorithmE0EiEvPT1_S3_j.num_vgpr, 11
	.set _Z19reduce_valid_kernelILj162ELN6hipcub20BlockReduceAlgorithmE0EiEvPT1_S3_j.num_agpr, 0
	.set _Z19reduce_valid_kernelILj162ELN6hipcub20BlockReduceAlgorithmE0EiEvPT1_S3_j.numbered_sgpr, 8
	.set _Z19reduce_valid_kernelILj162ELN6hipcub20BlockReduceAlgorithmE0EiEvPT1_S3_j.num_named_barrier, 0
	.set _Z19reduce_valid_kernelILj162ELN6hipcub20BlockReduceAlgorithmE0EiEvPT1_S3_j.private_seg_size, 0
	.set _Z19reduce_valid_kernelILj162ELN6hipcub20BlockReduceAlgorithmE0EiEvPT1_S3_j.uses_vcc, 1
	.set _Z19reduce_valid_kernelILj162ELN6hipcub20BlockReduceAlgorithmE0EiEvPT1_S3_j.uses_flat_scratch, 0
	.set _Z19reduce_valid_kernelILj162ELN6hipcub20BlockReduceAlgorithmE0EiEvPT1_S3_j.has_dyn_sized_stack, 0
	.set _Z19reduce_valid_kernelILj162ELN6hipcub20BlockReduceAlgorithmE0EiEvPT1_S3_j.has_recursion, 0
	.set _Z19reduce_valid_kernelILj162ELN6hipcub20BlockReduceAlgorithmE0EiEvPT1_S3_j.has_indirect_call, 0
	.section	.AMDGPU.csdata,"",@progbits
; Kernel info:
; codeLenInByte = 568
; TotalNumSgprs: 12
; NumVgprs: 11
; ScratchSize: 0
; MemoryBound: 0
; FloatMode: 240
; IeeeMode: 1
; LDSByteSize: 12 bytes/workgroup (compile time only)
; SGPRBlocks: 1
; VGPRBlocks: 2
; NumSGPRsForWavesPerEU: 12
; NumVGPRsForWavesPerEU: 11
; Occupancy: 10
; WaveLimiterHint : 0
; COMPUTE_PGM_RSRC2:SCRATCH_EN: 0
; COMPUTE_PGM_RSRC2:USER_SGPR: 6
; COMPUTE_PGM_RSRC2:TRAP_HANDLER: 0
; COMPUTE_PGM_RSRC2:TGID_X_EN: 1
; COMPUTE_PGM_RSRC2:TGID_Y_EN: 0
; COMPUTE_PGM_RSRC2:TGID_Z_EN: 0
; COMPUTE_PGM_RSRC2:TIDIG_COMP_CNT: 0
	.section	.text._Z19reduce_valid_kernelILj129ELN6hipcub20BlockReduceAlgorithmE0EiEvPT1_S3_j,"axG",@progbits,_Z19reduce_valid_kernelILj129ELN6hipcub20BlockReduceAlgorithmE0EiEvPT1_S3_j,comdat
	.protected	_Z19reduce_valid_kernelILj129ELN6hipcub20BlockReduceAlgorithmE0EiEvPT1_S3_j ; -- Begin function _Z19reduce_valid_kernelILj129ELN6hipcub20BlockReduceAlgorithmE0EiEvPT1_S3_j
	.globl	_Z19reduce_valid_kernelILj129ELN6hipcub20BlockReduceAlgorithmE0EiEvPT1_S3_j
	.p2align	8
	.type	_Z19reduce_valid_kernelILj129ELN6hipcub20BlockReduceAlgorithmE0EiEvPT1_S3_j,@function
_Z19reduce_valid_kernelILj129ELN6hipcub20BlockReduceAlgorithmE0EiEvPT1_S3_j: ; @_Z19reduce_valid_kernelILj129ELN6hipcub20BlockReduceAlgorithmE0EiEvPT1_S3_j
; %bb.0:
	s_load_dwordx4 s[0:3], s[4:5], 0x0
	s_load_dword s7, s[4:5], 0x10
	s_mul_i32 s4, s6, 0x81
	v_add_u32_e32 v1, s4, v0
	v_mov_b32_e32 v2, 0
	v_lshlrev_b64 v[1:2], 2, v[1:2]
	s_waitcnt lgkmcnt(0)
	v_mov_b32_e32 v3, s1
	v_add_co_u32_e32 v1, vcc, s0, v1
	v_addc_co_u32_e32 v2, vcc, v3, v2, vcc
	global_load_dword v2, v[1:2], off
	v_mbcnt_lo_u32_b32 v1, -1, 0
	v_mbcnt_hi_u32_b32 v1, -1, v1
	v_and_b32_e32 v4, 63, v1
	v_cmp_ne_u32_e32 vcc, 63, v4
	v_addc_co_u32_e32 v9, vcc, 0, v1, vcc
	v_lshlrev_b32_e32 v9, 2, v9
	v_and_b32_e32 v3, 0xc0, v0
	v_add_u32_e32 v5, 1, v1
	v_cmp_gt_u32_e32 vcc, 62, v4
	v_sub_u32_e64 v3, s7, v3 clamp
	v_cndmask_b32_e64 v10, 0, 2, vcc
	v_cmp_lt_u32_e32 vcc, v5, v3
	v_add_lshl_u32 v10, v10, v1, 2
	v_add_u32_e32 v6, 2, v1
	v_add_u32_e32 v7, 4, v1
	;; [unrolled: 1-line block ×3, first 2 shown]
	s_waitcnt vmcnt(0)
	ds_bpermute_b32 v9, v9, v2
	s_waitcnt lgkmcnt(0)
	v_cndmask_b32_e32 v5, 0, v9, vcc
	v_add_u32_e32 v2, v5, v2
	ds_bpermute_b32 v5, v10, v2
	v_cmp_gt_u32_e32 vcc, 60, v4
	v_cndmask_b32_e64 v9, 0, 4, vcc
	v_cmp_lt_u32_e32 vcc, v6, v3
	v_add_lshl_u32 v9, v9, v1, 2
	s_waitcnt lgkmcnt(0)
	v_cndmask_b32_e32 v5, 0, v5, vcc
	v_add_u32_e32 v2, v2, v5
	ds_bpermute_b32 v5, v9, v2
	v_cmp_gt_u32_e32 vcc, 56, v4
	v_cndmask_b32_e64 v6, 0, 8, vcc
	v_cmp_lt_u32_e32 vcc, v7, v3
	v_add_lshl_u32 v6, v6, v1, 2
	;; [unrolled: 8-line block ×3, first 2 shown]
	s_waitcnt lgkmcnt(0)
	v_cndmask_b32_e32 v5, 0, v5, vcc
	v_add_u32_e32 v5, v2, v5
	ds_bpermute_b32 v4, v4, v5
	v_add_u32_e32 v6, 16, v1
	v_cmp_lt_u32_e32 vcc, v6, v3
	v_lshlrev_b32_e32 v2, 2, v1
	v_or_b32_e32 v7, 0x80, v2
	s_waitcnt lgkmcnt(0)
	v_cndmask_b32_e32 v4, 0, v4, vcc
	v_add_u32_e32 v4, v5, v4
	ds_bpermute_b32 v5, v7, v4
	v_add_u32_e32 v6, 32, v1
	v_cmp_lt_u32_e32 vcc, v6, v3
	s_waitcnt lgkmcnt(0)
	v_cndmask_b32_e32 v3, 0, v5, vcc
	v_add_u32_e32 v3, v4, v3
	v_cmp_eq_u32_e32 vcc, 0, v1
	s_and_saveexec_b64 s[0:1], vcc
; %bb.1:
	v_lshrrev_b32_e32 v4, 4, v0
	v_and_b32_e32 v4, 12, v4
	ds_write_b32 v4, v3
; %bb.2:
	s_or_b64 exec, exec, s[0:1]
	v_cmp_gt_u32_e32 vcc, 3, v0
	s_waitcnt lgkmcnt(0)
	s_barrier
	s_and_saveexec_b64 s[0:1], vcc
	s_cbranch_execz .LBB73_4
; %bb.3:
	ds_read_b32 v3, v2
	v_and_b32_e32 v4, 3, v1
	v_cmp_ne_u32_e32 vcc, 3, v4
	v_addc_co_u32_e32 v1, vcc, 0, v1, vcc
	v_lshlrev_b32_e32 v1, 2, v1
	s_waitcnt lgkmcnt(0)
	ds_bpermute_b32 v1, v1, v3
	s_add_i32 s7, s7, 63
	s_lshr_b32 s4, s7, 6
	v_add_u32_e32 v5, 1, v4
	v_cmp_gt_u32_e32 vcc, s4, v5
	s_waitcnt lgkmcnt(0)
	v_cndmask_b32_e32 v1, 0, v1, vcc
	v_add_u32_e32 v1, v1, v3
	v_or_b32_e32 v2, 8, v2
	ds_bpermute_b32 v2, v2, v1
	v_add_u32_e32 v3, 2, v4
	v_cmp_gt_u32_e32 vcc, s4, v3
	s_waitcnt lgkmcnt(0)
	v_cndmask_b32_e32 v2, 0, v2, vcc
	v_add_u32_e32 v3, v1, v2
.LBB73_4:
	s_or_b64 exec, exec, s[0:1]
	s_mov_b32 s7, 0
	v_cmp_eq_u32_e32 vcc, 0, v0
	s_and_saveexec_b64 s[0:1], vcc
	s_cbranch_execz .LBB73_6
; %bb.5:
	s_lshl_b64 s[0:1], s[6:7], 2
	s_add_u32 s0, s2, s0
	s_addc_u32 s1, s3, s1
	v_mov_b32_e32 v0, 0
	global_store_dword v0, v3, s[0:1]
.LBB73_6:
	s_endpgm
	.section	.rodata,"a",@progbits
	.p2align	6, 0x0
	.amdhsa_kernel _Z19reduce_valid_kernelILj129ELN6hipcub20BlockReduceAlgorithmE0EiEvPT1_S3_j
		.amdhsa_group_segment_fixed_size 12
		.amdhsa_private_segment_fixed_size 0
		.amdhsa_kernarg_size 20
		.amdhsa_user_sgpr_count 6
		.amdhsa_user_sgpr_private_segment_buffer 1
		.amdhsa_user_sgpr_dispatch_ptr 0
		.amdhsa_user_sgpr_queue_ptr 0
		.amdhsa_user_sgpr_kernarg_segment_ptr 1
		.amdhsa_user_sgpr_dispatch_id 0
		.amdhsa_user_sgpr_flat_scratch_init 0
		.amdhsa_user_sgpr_private_segment_size 0
		.amdhsa_uses_dynamic_stack 0
		.amdhsa_system_sgpr_private_segment_wavefront_offset 0
		.amdhsa_system_sgpr_workgroup_id_x 1
		.amdhsa_system_sgpr_workgroup_id_y 0
		.amdhsa_system_sgpr_workgroup_id_z 0
		.amdhsa_system_sgpr_workgroup_info 0
		.amdhsa_system_vgpr_workitem_id 0
		.amdhsa_next_free_vgpr 11
		.amdhsa_next_free_sgpr 8
		.amdhsa_reserve_vcc 1
		.amdhsa_reserve_flat_scratch 0
		.amdhsa_float_round_mode_32 0
		.amdhsa_float_round_mode_16_64 0
		.amdhsa_float_denorm_mode_32 3
		.amdhsa_float_denorm_mode_16_64 3
		.amdhsa_dx10_clamp 1
		.amdhsa_ieee_mode 1
		.amdhsa_fp16_overflow 0
		.amdhsa_exception_fp_ieee_invalid_op 0
		.amdhsa_exception_fp_denorm_src 0
		.amdhsa_exception_fp_ieee_div_zero 0
		.amdhsa_exception_fp_ieee_overflow 0
		.amdhsa_exception_fp_ieee_underflow 0
		.amdhsa_exception_fp_ieee_inexact 0
		.amdhsa_exception_int_div_zero 0
	.end_amdhsa_kernel
	.section	.text._Z19reduce_valid_kernelILj129ELN6hipcub20BlockReduceAlgorithmE0EiEvPT1_S3_j,"axG",@progbits,_Z19reduce_valid_kernelILj129ELN6hipcub20BlockReduceAlgorithmE0EiEvPT1_S3_j,comdat
.Lfunc_end73:
	.size	_Z19reduce_valid_kernelILj129ELN6hipcub20BlockReduceAlgorithmE0EiEvPT1_S3_j, .Lfunc_end73-_Z19reduce_valid_kernelILj129ELN6hipcub20BlockReduceAlgorithmE0EiEvPT1_S3_j
                                        ; -- End function
	.set _Z19reduce_valid_kernelILj129ELN6hipcub20BlockReduceAlgorithmE0EiEvPT1_S3_j.num_vgpr, 11
	.set _Z19reduce_valid_kernelILj129ELN6hipcub20BlockReduceAlgorithmE0EiEvPT1_S3_j.num_agpr, 0
	.set _Z19reduce_valid_kernelILj129ELN6hipcub20BlockReduceAlgorithmE0EiEvPT1_S3_j.numbered_sgpr, 8
	.set _Z19reduce_valid_kernelILj129ELN6hipcub20BlockReduceAlgorithmE0EiEvPT1_S3_j.num_named_barrier, 0
	.set _Z19reduce_valid_kernelILj129ELN6hipcub20BlockReduceAlgorithmE0EiEvPT1_S3_j.private_seg_size, 0
	.set _Z19reduce_valid_kernelILj129ELN6hipcub20BlockReduceAlgorithmE0EiEvPT1_S3_j.uses_vcc, 1
	.set _Z19reduce_valid_kernelILj129ELN6hipcub20BlockReduceAlgorithmE0EiEvPT1_S3_j.uses_flat_scratch, 0
	.set _Z19reduce_valid_kernelILj129ELN6hipcub20BlockReduceAlgorithmE0EiEvPT1_S3_j.has_dyn_sized_stack, 0
	.set _Z19reduce_valid_kernelILj129ELN6hipcub20BlockReduceAlgorithmE0EiEvPT1_S3_j.has_recursion, 0
	.set _Z19reduce_valid_kernelILj129ELN6hipcub20BlockReduceAlgorithmE0EiEvPT1_S3_j.has_indirect_call, 0
	.section	.AMDGPU.csdata,"",@progbits
; Kernel info:
; codeLenInByte = 568
; TotalNumSgprs: 12
; NumVgprs: 11
; ScratchSize: 0
; MemoryBound: 0
; FloatMode: 240
; IeeeMode: 1
; LDSByteSize: 12 bytes/workgroup (compile time only)
; SGPRBlocks: 1
; VGPRBlocks: 2
; NumSGPRsForWavesPerEU: 12
; NumVGPRsForWavesPerEU: 11
; Occupancy: 10
; WaveLimiterHint : 0
; COMPUTE_PGM_RSRC2:SCRATCH_EN: 0
; COMPUTE_PGM_RSRC2:USER_SGPR: 6
; COMPUTE_PGM_RSRC2:TRAP_HANDLER: 0
; COMPUTE_PGM_RSRC2:TGID_X_EN: 1
; COMPUTE_PGM_RSRC2:TGID_Y_EN: 0
; COMPUTE_PGM_RSRC2:TGID_Z_EN: 0
; COMPUTE_PGM_RSRC2:TIDIG_COMP_CNT: 0
	.section	.text._Z19reduce_valid_kernelILj37ELN6hipcub20BlockReduceAlgorithmE0EiEvPT1_S3_j,"axG",@progbits,_Z19reduce_valid_kernelILj37ELN6hipcub20BlockReduceAlgorithmE0EiEvPT1_S3_j,comdat
	.protected	_Z19reduce_valid_kernelILj37ELN6hipcub20BlockReduceAlgorithmE0EiEvPT1_S3_j ; -- Begin function _Z19reduce_valid_kernelILj37ELN6hipcub20BlockReduceAlgorithmE0EiEvPT1_S3_j
	.globl	_Z19reduce_valid_kernelILj37ELN6hipcub20BlockReduceAlgorithmE0EiEvPT1_S3_j
	.p2align	8
	.type	_Z19reduce_valid_kernelILj37ELN6hipcub20BlockReduceAlgorithmE0EiEvPT1_S3_j,@function
_Z19reduce_valid_kernelILj37ELN6hipcub20BlockReduceAlgorithmE0EiEvPT1_S3_j: ; @_Z19reduce_valid_kernelILj37ELN6hipcub20BlockReduceAlgorithmE0EiEvPT1_S3_j
; %bb.0:
	v_mad_u64_u32 v[1:2], s[0:1], s6, 37, v[0:1]
	s_load_dwordx4 s[0:3], s[4:5], 0x0
	s_load_dword s8, s[4:5], 0x10
	v_mov_b32_e32 v2, 0
	v_lshlrev_b64 v[3:4], 2, v[1:2]
	s_mov_b32 s7, 0
	s_waitcnt lgkmcnt(0)
	v_mov_b32_e32 v1, s1
	v_add_co_u32_e32 v3, vcc, s0, v3
	v_addc_co_u32_e32 v4, vcc, v1, v4, vcc
	global_load_dword v3, v[3:4], off
	v_mbcnt_lo_u32_b32 v1, -1, 0
	v_mbcnt_hi_u32_b32 v1, -1, v1
	v_and_b32_e32 v4, 63, v1
	v_cmp_ne_u32_e32 vcc, 63, v4
	v_addc_co_u32_e32 v9, vcc, 0, v1, vcc
	v_lshlrev_b32_e32 v9, 2, v9
	v_add_u32_e32 v5, 1, v1
	v_cmp_gt_u32_e32 vcc, 62, v4
	v_cndmask_b32_e64 v10, 0, 2, vcc
	v_cmp_gt_u32_e32 vcc, s8, v5
	v_add_lshl_u32 v10, v10, v1, 2
	v_add_u32_e32 v6, 2, v1
	v_add_u32_e32 v7, 4, v1
	;; [unrolled: 1-line block ×3, first 2 shown]
	s_waitcnt vmcnt(0)
	ds_bpermute_b32 v9, v9, v3
	s_waitcnt lgkmcnt(0)
	v_cndmask_b32_e32 v5, 0, v9, vcc
	v_add_u32_e32 v3, v5, v3
	ds_bpermute_b32 v5, v10, v3
	v_cmp_gt_u32_e32 vcc, 60, v4
	v_cndmask_b32_e64 v9, 0, 4, vcc
	v_cmp_gt_u32_e32 vcc, s8, v6
	v_add_lshl_u32 v9, v9, v1, 2
	s_waitcnt lgkmcnt(0)
	v_cndmask_b32_e32 v5, 0, v5, vcc
	v_add_u32_e32 v3, v3, v5
	ds_bpermute_b32 v5, v9, v3
	v_cmp_gt_u32_e32 vcc, 56, v4
	v_cndmask_b32_e64 v6, 0, 8, vcc
	v_cmp_gt_u32_e32 vcc, s8, v7
	v_add_lshl_u32 v6, v6, v1, 2
	;; [unrolled: 8-line block ×3, first 2 shown]
	s_waitcnt lgkmcnt(0)
	v_cndmask_b32_e32 v5, 0, v5, vcc
	v_add_u32_e32 v3, v3, v5
	ds_bpermute_b32 v4, v4, v3
	v_add_u32_e32 v6, 16, v1
	v_cmp_gt_u32_e32 vcc, s8, v6
	v_mov_b32_e32 v5, 0x80
	s_waitcnt lgkmcnt(0)
	v_cndmask_b32_e32 v4, 0, v4, vcc
	v_add_u32_e32 v3, v3, v4
	v_lshl_or_b32 v4, v1, 2, v5
	ds_bpermute_b32 v4, v4, v3
	v_cmp_eq_u32_e32 vcc, 0, v0
	s_and_saveexec_b64 s[0:1], vcc
	s_cbranch_execz .LBB74_2
; %bb.1:
	v_add_u32_e32 v0, 32, v1
	s_lshl_b64 s[0:1], s[6:7], 2
	v_cmp_gt_u32_e32 vcc, s8, v0
	s_add_u32 s0, s2, s0
	s_waitcnt lgkmcnt(0)
	v_cndmask_b32_e32 v0, 0, v4, vcc
	s_addc_u32 s1, s3, s1
	v_add_u32_e32 v0, v3, v0
	global_store_dword v2, v0, s[0:1]
.LBB74_2:
	s_endpgm
	.section	.rodata,"a",@progbits
	.p2align	6, 0x0
	.amdhsa_kernel _Z19reduce_valid_kernelILj37ELN6hipcub20BlockReduceAlgorithmE0EiEvPT1_S3_j
		.amdhsa_group_segment_fixed_size 0
		.amdhsa_private_segment_fixed_size 0
		.amdhsa_kernarg_size 20
		.amdhsa_user_sgpr_count 6
		.amdhsa_user_sgpr_private_segment_buffer 1
		.amdhsa_user_sgpr_dispatch_ptr 0
		.amdhsa_user_sgpr_queue_ptr 0
		.amdhsa_user_sgpr_kernarg_segment_ptr 1
		.amdhsa_user_sgpr_dispatch_id 0
		.amdhsa_user_sgpr_flat_scratch_init 0
		.amdhsa_user_sgpr_private_segment_size 0
		.amdhsa_uses_dynamic_stack 0
		.amdhsa_system_sgpr_private_segment_wavefront_offset 0
		.amdhsa_system_sgpr_workgroup_id_x 1
		.amdhsa_system_sgpr_workgroup_id_y 0
		.amdhsa_system_sgpr_workgroup_id_z 0
		.amdhsa_system_sgpr_workgroup_info 0
		.amdhsa_system_vgpr_workitem_id 0
		.amdhsa_next_free_vgpr 11
		.amdhsa_next_free_sgpr 9
		.amdhsa_reserve_vcc 1
		.amdhsa_reserve_flat_scratch 0
		.amdhsa_float_round_mode_32 0
		.amdhsa_float_round_mode_16_64 0
		.amdhsa_float_denorm_mode_32 3
		.amdhsa_float_denorm_mode_16_64 3
		.amdhsa_dx10_clamp 1
		.amdhsa_ieee_mode 1
		.amdhsa_fp16_overflow 0
		.amdhsa_exception_fp_ieee_invalid_op 0
		.amdhsa_exception_fp_denorm_src 0
		.amdhsa_exception_fp_ieee_div_zero 0
		.amdhsa_exception_fp_ieee_overflow 0
		.amdhsa_exception_fp_ieee_underflow 0
		.amdhsa_exception_fp_ieee_inexact 0
		.amdhsa_exception_int_div_zero 0
	.end_amdhsa_kernel
	.section	.text._Z19reduce_valid_kernelILj37ELN6hipcub20BlockReduceAlgorithmE0EiEvPT1_S3_j,"axG",@progbits,_Z19reduce_valid_kernelILj37ELN6hipcub20BlockReduceAlgorithmE0EiEvPT1_S3_j,comdat
.Lfunc_end74:
	.size	_Z19reduce_valid_kernelILj37ELN6hipcub20BlockReduceAlgorithmE0EiEvPT1_S3_j, .Lfunc_end74-_Z19reduce_valid_kernelILj37ELN6hipcub20BlockReduceAlgorithmE0EiEvPT1_S3_j
                                        ; -- End function
	.set _Z19reduce_valid_kernelILj37ELN6hipcub20BlockReduceAlgorithmE0EiEvPT1_S3_j.num_vgpr, 11
	.set _Z19reduce_valid_kernelILj37ELN6hipcub20BlockReduceAlgorithmE0EiEvPT1_S3_j.num_agpr, 0
	.set _Z19reduce_valid_kernelILj37ELN6hipcub20BlockReduceAlgorithmE0EiEvPT1_S3_j.numbered_sgpr, 9
	.set _Z19reduce_valid_kernelILj37ELN6hipcub20BlockReduceAlgorithmE0EiEvPT1_S3_j.num_named_barrier, 0
	.set _Z19reduce_valid_kernelILj37ELN6hipcub20BlockReduceAlgorithmE0EiEvPT1_S3_j.private_seg_size, 0
	.set _Z19reduce_valid_kernelILj37ELN6hipcub20BlockReduceAlgorithmE0EiEvPT1_S3_j.uses_vcc, 1
	.set _Z19reduce_valid_kernelILj37ELN6hipcub20BlockReduceAlgorithmE0EiEvPT1_S3_j.uses_flat_scratch, 0
	.set _Z19reduce_valid_kernelILj37ELN6hipcub20BlockReduceAlgorithmE0EiEvPT1_S3_j.has_dyn_sized_stack, 0
	.set _Z19reduce_valid_kernelILj37ELN6hipcub20BlockReduceAlgorithmE0EiEvPT1_S3_j.has_recursion, 0
	.set _Z19reduce_valid_kernelILj37ELN6hipcub20BlockReduceAlgorithmE0EiEvPT1_S3_j.has_indirect_call, 0
	.section	.AMDGPU.csdata,"",@progbits
; Kernel info:
; codeLenInByte = 400
; TotalNumSgprs: 13
; NumVgprs: 11
; ScratchSize: 0
; MemoryBound: 0
; FloatMode: 240
; IeeeMode: 1
; LDSByteSize: 0 bytes/workgroup (compile time only)
; SGPRBlocks: 1
; VGPRBlocks: 2
; NumSGPRsForWavesPerEU: 13
; NumVGPRsForWavesPerEU: 11
; Occupancy: 10
; WaveLimiterHint : 0
; COMPUTE_PGM_RSRC2:SCRATCH_EN: 0
; COMPUTE_PGM_RSRC2:USER_SGPR: 6
; COMPUTE_PGM_RSRC2:TRAP_HANDLER: 0
; COMPUTE_PGM_RSRC2:TGID_X_EN: 1
; COMPUTE_PGM_RSRC2:TGID_Y_EN: 0
; COMPUTE_PGM_RSRC2:TGID_Z_EN: 0
; COMPUTE_PGM_RSRC2:TIDIG_COMP_CNT: 0
	.section	.text._Z19reduce_valid_kernelILj65ELN6hipcub20BlockReduceAlgorithmE0EiEvPT1_S3_j,"axG",@progbits,_Z19reduce_valid_kernelILj65ELN6hipcub20BlockReduceAlgorithmE0EiEvPT1_S3_j,comdat
	.protected	_Z19reduce_valid_kernelILj65ELN6hipcub20BlockReduceAlgorithmE0EiEvPT1_S3_j ; -- Begin function _Z19reduce_valid_kernelILj65ELN6hipcub20BlockReduceAlgorithmE0EiEvPT1_S3_j
	.globl	_Z19reduce_valid_kernelILj65ELN6hipcub20BlockReduceAlgorithmE0EiEvPT1_S3_j
	.p2align	8
	.type	_Z19reduce_valid_kernelILj65ELN6hipcub20BlockReduceAlgorithmE0EiEvPT1_S3_j,@function
_Z19reduce_valid_kernelILj65ELN6hipcub20BlockReduceAlgorithmE0EiEvPT1_S3_j: ; @_Z19reduce_valid_kernelILj65ELN6hipcub20BlockReduceAlgorithmE0EiEvPT1_S3_j
; %bb.0:
	s_load_dwordx4 s[0:3], s[4:5], 0x0
	s_load_dword s7, s[4:5], 0x10
	s_mul_i32 s4, s6, 0x41
	v_add_u32_e32 v1, s4, v0
	v_mov_b32_e32 v2, 0
	v_lshlrev_b64 v[1:2], 2, v[1:2]
	s_waitcnt lgkmcnt(0)
	v_mov_b32_e32 v3, s1
	v_add_co_u32_e32 v1, vcc, s0, v1
	v_addc_co_u32_e32 v2, vcc, v3, v2, vcc
	global_load_dword v2, v[1:2], off
	v_mbcnt_lo_u32_b32 v1, -1, 0
	v_mbcnt_hi_u32_b32 v1, -1, v1
	v_and_b32_e32 v4, 63, v1
	v_cmp_ne_u32_e32 vcc, 63, v4
	v_addc_co_u32_e32 v9, vcc, 0, v1, vcc
	v_lshlrev_b32_e32 v9, 2, v9
	v_and_b32_e32 v3, 64, v0
	v_add_u32_e32 v5, 1, v1
	v_cmp_gt_u32_e32 vcc, 62, v4
	v_sub_u32_e64 v11, s7, v3 clamp
	v_cndmask_b32_e64 v10, 0, 2, vcc
	v_cmp_lt_u32_e32 vcc, v5, v11
	v_add_lshl_u32 v10, v10, v1, 2
	v_add_u32_e32 v6, 2, v1
	v_add_u32_e32 v7, 4, v1
	v_add_u32_e32 v8, 8, v1
	s_waitcnt vmcnt(0)
	ds_bpermute_b32 v9, v9, v2
	s_waitcnt lgkmcnt(0)
	v_cndmask_b32_e32 v3, 0, v9, vcc
	v_add_u32_e32 v2, v3, v2
	ds_bpermute_b32 v3, v10, v2
	v_cmp_gt_u32_e32 vcc, 60, v4
	v_cndmask_b32_e64 v5, 0, 4, vcc
	v_cmp_lt_u32_e32 vcc, v6, v11
	v_add_lshl_u32 v5, v5, v1, 2
	s_waitcnt lgkmcnt(0)
	v_cndmask_b32_e32 v3, 0, v3, vcc
	v_add_u32_e32 v2, v2, v3
	ds_bpermute_b32 v3, v5, v2
	v_cmp_gt_u32_e32 vcc, 56, v4
	v_cndmask_b32_e64 v5, 0, 8, vcc
	v_cmp_lt_u32_e32 vcc, v7, v11
	v_add_lshl_u32 v5, v5, v1, 2
	;; [unrolled: 8-line block ×3, first 2 shown]
	s_waitcnt lgkmcnt(0)
	v_cndmask_b32_e32 v3, 0, v3, vcc
	v_add_u32_e32 v2, v2, v3
	ds_bpermute_b32 v4, v4, v2
	v_add_u32_e32 v5, 16, v1
	v_cmp_lt_u32_e32 vcc, v5, v11
	v_lshlrev_b32_e32 v3, 2, v1
	v_or_b32_e32 v6, 0x80, v3
	s_waitcnt lgkmcnt(0)
	v_cndmask_b32_e32 v4, 0, v4, vcc
	v_add_u32_e32 v2, v2, v4
	ds_bpermute_b32 v4, v6, v2
	v_add_u32_e32 v5, 32, v1
	v_cmp_lt_u32_e32 vcc, v5, v11
	s_waitcnt lgkmcnt(0)
	v_cndmask_b32_e32 v4, 0, v4, vcc
	v_add_u32_e32 v2, v2, v4
	v_cmp_eq_u32_e32 vcc, 0, v1
	s_and_saveexec_b64 s[0:1], vcc
; %bb.1:
	v_lshrrev_b32_e32 v4, 4, v0
	v_and_b32_e32 v4, 4, v4
	ds_write_b32 v4, v2
; %bb.2:
	s_or_b64 exec, exec, s[0:1]
	v_cmp_gt_u32_e32 vcc, 2, v0
	s_waitcnt lgkmcnt(0)
	s_barrier
	s_and_saveexec_b64 s[0:1], vcc
	s_cbranch_execz .LBB75_4
; %bb.3:
	ds_read_b32 v2, v3
	v_or_b32_e32 v3, 4, v3
	v_and_b32_e32 v1, 1, v1
	s_add_i32 s7, s7, 63
	v_add_u32_e32 v1, 1, v1
	s_waitcnt lgkmcnt(0)
	ds_bpermute_b32 v3, v3, v2
	s_lshr_b32 s4, s7, 6
	v_cmp_gt_u32_e32 vcc, s4, v1
	s_waitcnt lgkmcnt(0)
	v_cndmask_b32_e32 v1, 0, v3, vcc
	v_add_u32_e32 v2, v1, v2
.LBB75_4:
	s_or_b64 exec, exec, s[0:1]
	s_mov_b32 s7, 0
	v_cmp_eq_u32_e32 vcc, 0, v0
	s_and_saveexec_b64 s[0:1], vcc
	s_cbranch_execz .LBB75_6
; %bb.5:
	s_lshl_b64 s[0:1], s[6:7], 2
	s_add_u32 s0, s2, s0
	s_addc_u32 s1, s3, s1
	v_mov_b32_e32 v0, 0
	global_store_dword v0, v2, s[0:1]
.LBB75_6:
	s_endpgm
	.section	.rodata,"a",@progbits
	.p2align	6, 0x0
	.amdhsa_kernel _Z19reduce_valid_kernelILj65ELN6hipcub20BlockReduceAlgorithmE0EiEvPT1_S3_j
		.amdhsa_group_segment_fixed_size 8
		.amdhsa_private_segment_fixed_size 0
		.amdhsa_kernarg_size 20
		.amdhsa_user_sgpr_count 6
		.amdhsa_user_sgpr_private_segment_buffer 1
		.amdhsa_user_sgpr_dispatch_ptr 0
		.amdhsa_user_sgpr_queue_ptr 0
		.amdhsa_user_sgpr_kernarg_segment_ptr 1
		.amdhsa_user_sgpr_dispatch_id 0
		.amdhsa_user_sgpr_flat_scratch_init 0
		.amdhsa_user_sgpr_private_segment_size 0
		.amdhsa_uses_dynamic_stack 0
		.amdhsa_system_sgpr_private_segment_wavefront_offset 0
		.amdhsa_system_sgpr_workgroup_id_x 1
		.amdhsa_system_sgpr_workgroup_id_y 0
		.amdhsa_system_sgpr_workgroup_id_z 0
		.amdhsa_system_sgpr_workgroup_info 0
		.amdhsa_system_vgpr_workitem_id 0
		.amdhsa_next_free_vgpr 12
		.amdhsa_next_free_sgpr 8
		.amdhsa_reserve_vcc 1
		.amdhsa_reserve_flat_scratch 0
		.amdhsa_float_round_mode_32 0
		.amdhsa_float_round_mode_16_64 0
		.amdhsa_float_denorm_mode_32 3
		.amdhsa_float_denorm_mode_16_64 3
		.amdhsa_dx10_clamp 1
		.amdhsa_ieee_mode 1
		.amdhsa_fp16_overflow 0
		.amdhsa_exception_fp_ieee_invalid_op 0
		.amdhsa_exception_fp_denorm_src 0
		.amdhsa_exception_fp_ieee_div_zero 0
		.amdhsa_exception_fp_ieee_overflow 0
		.amdhsa_exception_fp_ieee_underflow 0
		.amdhsa_exception_fp_ieee_inexact 0
		.amdhsa_exception_int_div_zero 0
	.end_amdhsa_kernel
	.section	.text._Z19reduce_valid_kernelILj65ELN6hipcub20BlockReduceAlgorithmE0EiEvPT1_S3_j,"axG",@progbits,_Z19reduce_valid_kernelILj65ELN6hipcub20BlockReduceAlgorithmE0EiEvPT1_S3_j,comdat
.Lfunc_end75:
	.size	_Z19reduce_valid_kernelILj65ELN6hipcub20BlockReduceAlgorithmE0EiEvPT1_S3_j, .Lfunc_end75-_Z19reduce_valid_kernelILj65ELN6hipcub20BlockReduceAlgorithmE0EiEvPT1_S3_j
                                        ; -- End function
	.set _Z19reduce_valid_kernelILj65ELN6hipcub20BlockReduceAlgorithmE0EiEvPT1_S3_j.num_vgpr, 12
	.set _Z19reduce_valid_kernelILj65ELN6hipcub20BlockReduceAlgorithmE0EiEvPT1_S3_j.num_agpr, 0
	.set _Z19reduce_valid_kernelILj65ELN6hipcub20BlockReduceAlgorithmE0EiEvPT1_S3_j.numbered_sgpr, 8
	.set _Z19reduce_valid_kernelILj65ELN6hipcub20BlockReduceAlgorithmE0EiEvPT1_S3_j.num_named_barrier, 0
	.set _Z19reduce_valid_kernelILj65ELN6hipcub20BlockReduceAlgorithmE0EiEvPT1_S3_j.private_seg_size, 0
	.set _Z19reduce_valid_kernelILj65ELN6hipcub20BlockReduceAlgorithmE0EiEvPT1_S3_j.uses_vcc, 1
	.set _Z19reduce_valid_kernelILj65ELN6hipcub20BlockReduceAlgorithmE0EiEvPT1_S3_j.uses_flat_scratch, 0
	.set _Z19reduce_valid_kernelILj65ELN6hipcub20BlockReduceAlgorithmE0EiEvPT1_S3_j.has_dyn_sized_stack, 0
	.set _Z19reduce_valid_kernelILj65ELN6hipcub20BlockReduceAlgorithmE0EiEvPT1_S3_j.has_recursion, 0
	.set _Z19reduce_valid_kernelILj65ELN6hipcub20BlockReduceAlgorithmE0EiEvPT1_S3_j.has_indirect_call, 0
	.section	.AMDGPU.csdata,"",@progbits
; Kernel info:
; codeLenInByte = 524
; TotalNumSgprs: 12
; NumVgprs: 12
; ScratchSize: 0
; MemoryBound: 0
; FloatMode: 240
; IeeeMode: 1
; LDSByteSize: 8 bytes/workgroup (compile time only)
; SGPRBlocks: 1
; VGPRBlocks: 2
; NumSGPRsForWavesPerEU: 12
; NumVGPRsForWavesPerEU: 12
; Occupancy: 10
; WaveLimiterHint : 0
; COMPUTE_PGM_RSRC2:SCRATCH_EN: 0
; COMPUTE_PGM_RSRC2:USER_SGPR: 6
; COMPUTE_PGM_RSRC2:TRAP_HANDLER: 0
; COMPUTE_PGM_RSRC2:TGID_X_EN: 1
; COMPUTE_PGM_RSRC2:TGID_Y_EN: 0
; COMPUTE_PGM_RSRC2:TGID_Z_EN: 0
; COMPUTE_PGM_RSRC2:TIDIG_COMP_CNT: 0
	.section	.text._Z19reduce_valid_kernelILj1024ELN6hipcub20BlockReduceAlgorithmE0EiEvPT1_S3_j,"axG",@progbits,_Z19reduce_valid_kernelILj1024ELN6hipcub20BlockReduceAlgorithmE0EiEvPT1_S3_j,comdat
	.protected	_Z19reduce_valid_kernelILj1024ELN6hipcub20BlockReduceAlgorithmE0EiEvPT1_S3_j ; -- Begin function _Z19reduce_valid_kernelILj1024ELN6hipcub20BlockReduceAlgorithmE0EiEvPT1_S3_j
	.globl	_Z19reduce_valid_kernelILj1024ELN6hipcub20BlockReduceAlgorithmE0EiEvPT1_S3_j
	.p2align	8
	.type	_Z19reduce_valid_kernelILj1024ELN6hipcub20BlockReduceAlgorithmE0EiEvPT1_S3_j,@function
_Z19reduce_valid_kernelILj1024ELN6hipcub20BlockReduceAlgorithmE0EiEvPT1_S3_j: ; @_Z19reduce_valid_kernelILj1024ELN6hipcub20BlockReduceAlgorithmE0EiEvPT1_S3_j
; %bb.0:
	s_load_dwordx4 s[0:3], s[4:5], 0x0
	s_load_dword s7, s[4:5], 0x10
	v_lshl_or_b32 v1, s6, 10, v0
	v_mov_b32_e32 v2, 0
	v_lshlrev_b64 v[1:2], 2, v[1:2]
	s_waitcnt lgkmcnt(0)
	v_mov_b32_e32 v3, s1
	v_add_co_u32_e32 v1, vcc, s0, v1
	v_addc_co_u32_e32 v2, vcc, v3, v2, vcc
	global_load_dword v2, v[1:2], off
	v_mbcnt_lo_u32_b32 v1, -1, 0
	v_mbcnt_hi_u32_b32 v1, -1, v1
	v_and_b32_e32 v4, 63, v1
	v_cmp_ne_u32_e32 vcc, 63, v4
	v_addc_co_u32_e32 v9, vcc, 0, v1, vcc
	v_lshlrev_b32_e32 v9, 2, v9
	v_and_b32_e32 v3, 0x3c0, v0
	v_add_u32_e32 v5, 1, v1
	v_cmp_gt_u32_e32 vcc, 62, v4
	v_sub_u32_e64 v3, s7, v3 clamp
	v_cndmask_b32_e64 v10, 0, 2, vcc
	v_cmp_lt_u32_e32 vcc, v5, v3
	v_add_lshl_u32 v10, v10, v1, 2
	v_add_u32_e32 v6, 2, v1
	v_add_u32_e32 v7, 4, v1
	;; [unrolled: 1-line block ×3, first 2 shown]
	s_waitcnt vmcnt(0)
	ds_bpermute_b32 v9, v9, v2
	s_waitcnt lgkmcnt(0)
	v_cndmask_b32_e32 v5, 0, v9, vcc
	v_add_u32_e32 v2, v5, v2
	ds_bpermute_b32 v5, v10, v2
	v_cmp_gt_u32_e32 vcc, 60, v4
	v_cndmask_b32_e64 v9, 0, 4, vcc
	v_cmp_lt_u32_e32 vcc, v6, v3
	v_add_lshl_u32 v9, v9, v1, 2
	s_waitcnt lgkmcnt(0)
	v_cndmask_b32_e32 v5, 0, v5, vcc
	v_add_u32_e32 v2, v2, v5
	ds_bpermute_b32 v5, v9, v2
	v_cmp_gt_u32_e32 vcc, 56, v4
	v_cndmask_b32_e64 v6, 0, 8, vcc
	v_cmp_lt_u32_e32 vcc, v7, v3
	v_add_lshl_u32 v6, v6, v1, 2
	;; [unrolled: 8-line block ×3, first 2 shown]
	s_waitcnt lgkmcnt(0)
	v_cndmask_b32_e32 v5, 0, v5, vcc
	v_add_u32_e32 v5, v2, v5
	ds_bpermute_b32 v4, v4, v5
	v_add_u32_e32 v6, 16, v1
	v_cmp_lt_u32_e32 vcc, v6, v3
	v_lshlrev_b32_e32 v2, 2, v1
	v_or_b32_e32 v7, 0x80, v2
	s_waitcnt lgkmcnt(0)
	v_cndmask_b32_e32 v4, 0, v4, vcc
	v_add_u32_e32 v4, v5, v4
	ds_bpermute_b32 v5, v7, v4
	v_add_u32_e32 v6, 32, v1
	v_cmp_lt_u32_e32 vcc, v6, v3
	s_waitcnt lgkmcnt(0)
	v_cndmask_b32_e32 v3, 0, v5, vcc
	v_add_u32_e32 v3, v4, v3
	v_cmp_eq_u32_e32 vcc, 0, v1
	s_and_saveexec_b64 s[0:1], vcc
; %bb.1:
	v_lshrrev_b32_e32 v4, 4, v0
	v_and_b32_e32 v4, 60, v4
	ds_write_b32 v4, v3
; %bb.2:
	s_or_b64 exec, exec, s[0:1]
	v_cmp_gt_u32_e32 vcc, 16, v0
	s_waitcnt lgkmcnt(0)
	s_barrier
	s_and_saveexec_b64 s[0:1], vcc
	s_cbranch_execz .LBB76_4
; %bb.3:
	ds_read_b32 v3, v2
	v_and_b32_e32 v4, 15, v1
	v_cmp_ne_u32_e32 vcc, 15, v4
	v_addc_co_u32_e32 v5, vcc, 0, v1, vcc
	v_lshlrev_b32_e32 v5, 2, v5
	s_waitcnt lgkmcnt(0)
	ds_bpermute_b32 v5, v5, v3
	s_add_i32 s7, s7, 63
	s_lshr_b32 s4, s7, 6
	v_add_u32_e32 v6, 1, v4
	v_cmp_gt_u32_e32 vcc, s4, v6
	s_waitcnt lgkmcnt(0)
	v_cndmask_b32_e32 v5, 0, v5, vcc
	v_cmp_gt_u32_e32 vcc, 14, v4
	v_add_u32_e32 v3, v5, v3
	v_cndmask_b32_e64 v5, 0, 2, vcc
	v_add_lshl_u32 v5, v5, v1, 2
	ds_bpermute_b32 v5, v5, v3
	v_add_u32_e32 v6, 2, v4
	v_cmp_gt_u32_e32 vcc, s4, v6
	v_or_b32_e32 v2, 32, v2
	s_waitcnt lgkmcnt(0)
	v_cndmask_b32_e32 v5, 0, v5, vcc
	v_cmp_gt_u32_e32 vcc, 12, v4
	v_add_u32_e32 v3, v3, v5
	v_cndmask_b32_e64 v5, 0, 4, vcc
	v_add_lshl_u32 v1, v5, v1, 2
	ds_bpermute_b32 v1, v1, v3
	v_add_u32_e32 v5, 4, v4
	v_cmp_gt_u32_e32 vcc, s4, v5
	s_waitcnt lgkmcnt(0)
	v_cndmask_b32_e32 v1, 0, v1, vcc
	v_add_u32_e32 v1, v3, v1
	ds_bpermute_b32 v2, v2, v1
	v_add_u32_e32 v3, 8, v4
	v_cmp_gt_u32_e32 vcc, s4, v3
	s_waitcnt lgkmcnt(0)
	v_cndmask_b32_e32 v2, 0, v2, vcc
	v_add_u32_e32 v3, v1, v2
.LBB76_4:
	s_or_b64 exec, exec, s[0:1]
	s_mov_b32 s7, 0
	v_cmp_eq_u32_e32 vcc, 0, v0
	s_and_saveexec_b64 s[0:1], vcc
	s_cbranch_execz .LBB76_6
; %bb.5:
	s_lshl_b64 s[0:1], s[6:7], 2
	s_add_u32 s0, s2, s0
	s_addc_u32 s1, s3, s1
	v_mov_b32_e32 v0, 0
	global_store_dword v0, v3, s[0:1]
.LBB76_6:
	s_endpgm
	.section	.rodata,"a",@progbits
	.p2align	6, 0x0
	.amdhsa_kernel _Z19reduce_valid_kernelILj1024ELN6hipcub20BlockReduceAlgorithmE0EiEvPT1_S3_j
		.amdhsa_group_segment_fixed_size 64
		.amdhsa_private_segment_fixed_size 0
		.amdhsa_kernarg_size 20
		.amdhsa_user_sgpr_count 6
		.amdhsa_user_sgpr_private_segment_buffer 1
		.amdhsa_user_sgpr_dispatch_ptr 0
		.amdhsa_user_sgpr_queue_ptr 0
		.amdhsa_user_sgpr_kernarg_segment_ptr 1
		.amdhsa_user_sgpr_dispatch_id 0
		.amdhsa_user_sgpr_flat_scratch_init 0
		.amdhsa_user_sgpr_private_segment_size 0
		.amdhsa_uses_dynamic_stack 0
		.amdhsa_system_sgpr_private_segment_wavefront_offset 0
		.amdhsa_system_sgpr_workgroup_id_x 1
		.amdhsa_system_sgpr_workgroup_id_y 0
		.amdhsa_system_sgpr_workgroup_id_z 0
		.amdhsa_system_sgpr_workgroup_info 0
		.amdhsa_system_vgpr_workitem_id 0
		.amdhsa_next_free_vgpr 11
		.amdhsa_next_free_sgpr 8
		.amdhsa_reserve_vcc 1
		.amdhsa_reserve_flat_scratch 0
		.amdhsa_float_round_mode_32 0
		.amdhsa_float_round_mode_16_64 0
		.amdhsa_float_denorm_mode_32 3
		.amdhsa_float_denorm_mode_16_64 3
		.amdhsa_dx10_clamp 1
		.amdhsa_ieee_mode 1
		.amdhsa_fp16_overflow 0
		.amdhsa_exception_fp_ieee_invalid_op 0
		.amdhsa_exception_fp_denorm_src 0
		.amdhsa_exception_fp_ieee_div_zero 0
		.amdhsa_exception_fp_ieee_overflow 0
		.amdhsa_exception_fp_ieee_underflow 0
		.amdhsa_exception_fp_ieee_inexact 0
		.amdhsa_exception_int_div_zero 0
	.end_amdhsa_kernel
	.section	.text._Z19reduce_valid_kernelILj1024ELN6hipcub20BlockReduceAlgorithmE0EiEvPT1_S3_j,"axG",@progbits,_Z19reduce_valid_kernelILj1024ELN6hipcub20BlockReduceAlgorithmE0EiEvPT1_S3_j,comdat
.Lfunc_end76:
	.size	_Z19reduce_valid_kernelILj1024ELN6hipcub20BlockReduceAlgorithmE0EiEvPT1_S3_j, .Lfunc_end76-_Z19reduce_valid_kernelILj1024ELN6hipcub20BlockReduceAlgorithmE0EiEvPT1_S3_j
                                        ; -- End function
	.set _Z19reduce_valid_kernelILj1024ELN6hipcub20BlockReduceAlgorithmE0EiEvPT1_S3_j.num_vgpr, 11
	.set _Z19reduce_valid_kernelILj1024ELN6hipcub20BlockReduceAlgorithmE0EiEvPT1_S3_j.num_agpr, 0
	.set _Z19reduce_valid_kernelILj1024ELN6hipcub20BlockReduceAlgorithmE0EiEvPT1_S3_j.numbered_sgpr, 8
	.set _Z19reduce_valid_kernelILj1024ELN6hipcub20BlockReduceAlgorithmE0EiEvPT1_S3_j.num_named_barrier, 0
	.set _Z19reduce_valid_kernelILj1024ELN6hipcub20BlockReduceAlgorithmE0EiEvPT1_S3_j.private_seg_size, 0
	.set _Z19reduce_valid_kernelILj1024ELN6hipcub20BlockReduceAlgorithmE0EiEvPT1_S3_j.uses_vcc, 1
	.set _Z19reduce_valid_kernelILj1024ELN6hipcub20BlockReduceAlgorithmE0EiEvPT1_S3_j.uses_flat_scratch, 0
	.set _Z19reduce_valid_kernelILj1024ELN6hipcub20BlockReduceAlgorithmE0EiEvPT1_S3_j.has_dyn_sized_stack, 0
	.set _Z19reduce_valid_kernelILj1024ELN6hipcub20BlockReduceAlgorithmE0EiEvPT1_S3_j.has_recursion, 0
	.set _Z19reduce_valid_kernelILj1024ELN6hipcub20BlockReduceAlgorithmE0EiEvPT1_S3_j.has_indirect_call, 0
	.section	.AMDGPU.csdata,"",@progbits
; Kernel info:
; codeLenInByte = 660
; TotalNumSgprs: 12
; NumVgprs: 11
; ScratchSize: 0
; MemoryBound: 0
; FloatMode: 240
; IeeeMode: 1
; LDSByteSize: 64 bytes/workgroup (compile time only)
; SGPRBlocks: 1
; VGPRBlocks: 2
; NumSGPRsForWavesPerEU: 12
; NumVGPRsForWavesPerEU: 11
; Occupancy: 10
; WaveLimiterHint : 0
; COMPUTE_PGM_RSRC2:SCRATCH_EN: 0
; COMPUTE_PGM_RSRC2:USER_SGPR: 6
; COMPUTE_PGM_RSRC2:TRAP_HANDLER: 0
; COMPUTE_PGM_RSRC2:TGID_X_EN: 1
; COMPUTE_PGM_RSRC2:TGID_Y_EN: 0
; COMPUTE_PGM_RSRC2:TGID_Z_EN: 0
; COMPUTE_PGM_RSRC2:TIDIG_COMP_CNT: 0
	.section	.text._Z19reduce_valid_kernelILj512ELN6hipcub20BlockReduceAlgorithmE0EiEvPT1_S3_j,"axG",@progbits,_Z19reduce_valid_kernelILj512ELN6hipcub20BlockReduceAlgorithmE0EiEvPT1_S3_j,comdat
	.protected	_Z19reduce_valid_kernelILj512ELN6hipcub20BlockReduceAlgorithmE0EiEvPT1_S3_j ; -- Begin function _Z19reduce_valid_kernelILj512ELN6hipcub20BlockReduceAlgorithmE0EiEvPT1_S3_j
	.globl	_Z19reduce_valid_kernelILj512ELN6hipcub20BlockReduceAlgorithmE0EiEvPT1_S3_j
	.p2align	8
	.type	_Z19reduce_valid_kernelILj512ELN6hipcub20BlockReduceAlgorithmE0EiEvPT1_S3_j,@function
_Z19reduce_valid_kernelILj512ELN6hipcub20BlockReduceAlgorithmE0EiEvPT1_S3_j: ; @_Z19reduce_valid_kernelILj512ELN6hipcub20BlockReduceAlgorithmE0EiEvPT1_S3_j
; %bb.0:
	s_load_dwordx4 s[0:3], s[4:5], 0x0
	s_load_dword s7, s[4:5], 0x10
	v_lshl_or_b32 v1, s6, 9, v0
	v_mov_b32_e32 v2, 0
	v_lshlrev_b64 v[1:2], 2, v[1:2]
	s_waitcnt lgkmcnt(0)
	v_mov_b32_e32 v3, s1
	v_add_co_u32_e32 v1, vcc, s0, v1
	v_addc_co_u32_e32 v2, vcc, v3, v2, vcc
	global_load_dword v2, v[1:2], off
	v_mbcnt_lo_u32_b32 v1, -1, 0
	v_mbcnt_hi_u32_b32 v1, -1, v1
	v_and_b32_e32 v4, 63, v1
	v_cmp_ne_u32_e32 vcc, 63, v4
	v_addc_co_u32_e32 v9, vcc, 0, v1, vcc
	v_lshlrev_b32_e32 v9, 2, v9
	v_and_b32_e32 v3, 0x1c0, v0
	v_add_u32_e32 v5, 1, v1
	v_cmp_gt_u32_e32 vcc, 62, v4
	v_sub_u32_e64 v3, s7, v3 clamp
	v_cndmask_b32_e64 v10, 0, 2, vcc
	v_cmp_lt_u32_e32 vcc, v5, v3
	v_add_lshl_u32 v10, v10, v1, 2
	v_add_u32_e32 v6, 2, v1
	v_add_u32_e32 v7, 4, v1
	;; [unrolled: 1-line block ×3, first 2 shown]
	s_waitcnt vmcnt(0)
	ds_bpermute_b32 v9, v9, v2
	s_waitcnt lgkmcnt(0)
	v_cndmask_b32_e32 v5, 0, v9, vcc
	v_add_u32_e32 v2, v5, v2
	ds_bpermute_b32 v5, v10, v2
	v_cmp_gt_u32_e32 vcc, 60, v4
	v_cndmask_b32_e64 v9, 0, 4, vcc
	v_cmp_lt_u32_e32 vcc, v6, v3
	v_add_lshl_u32 v9, v9, v1, 2
	s_waitcnt lgkmcnt(0)
	v_cndmask_b32_e32 v5, 0, v5, vcc
	v_add_u32_e32 v2, v2, v5
	ds_bpermute_b32 v5, v9, v2
	v_cmp_gt_u32_e32 vcc, 56, v4
	v_cndmask_b32_e64 v6, 0, 8, vcc
	v_cmp_lt_u32_e32 vcc, v7, v3
	v_add_lshl_u32 v6, v6, v1, 2
	;; [unrolled: 8-line block ×3, first 2 shown]
	s_waitcnt lgkmcnt(0)
	v_cndmask_b32_e32 v5, 0, v5, vcc
	v_add_u32_e32 v5, v2, v5
	ds_bpermute_b32 v4, v4, v5
	v_add_u32_e32 v6, 16, v1
	v_cmp_lt_u32_e32 vcc, v6, v3
	v_lshlrev_b32_e32 v2, 2, v1
	v_or_b32_e32 v7, 0x80, v2
	s_waitcnt lgkmcnt(0)
	v_cndmask_b32_e32 v4, 0, v4, vcc
	v_add_u32_e32 v4, v5, v4
	ds_bpermute_b32 v5, v7, v4
	v_add_u32_e32 v6, 32, v1
	v_cmp_lt_u32_e32 vcc, v6, v3
	s_waitcnt lgkmcnt(0)
	v_cndmask_b32_e32 v3, 0, v5, vcc
	v_add_u32_e32 v3, v4, v3
	v_cmp_eq_u32_e32 vcc, 0, v1
	s_and_saveexec_b64 s[0:1], vcc
; %bb.1:
	v_lshrrev_b32_e32 v4, 4, v0
	v_and_b32_e32 v4, 28, v4
	ds_write_b32 v4, v3
; %bb.2:
	s_or_b64 exec, exec, s[0:1]
	v_cmp_gt_u32_e32 vcc, 8, v0
	s_waitcnt lgkmcnt(0)
	s_barrier
	s_and_saveexec_b64 s[0:1], vcc
	s_cbranch_execz .LBB77_4
; %bb.3:
	ds_read_b32 v3, v2
	v_and_b32_e32 v4, 7, v1
	v_cmp_ne_u32_e32 vcc, 7, v4
	v_addc_co_u32_e32 v5, vcc, 0, v1, vcc
	v_lshlrev_b32_e32 v5, 2, v5
	s_waitcnt lgkmcnt(0)
	ds_bpermute_b32 v5, v5, v3
	s_add_i32 s7, s7, 63
	s_lshr_b32 s4, s7, 6
	v_add_u32_e32 v6, 1, v4
	v_cmp_gt_u32_e32 vcc, s4, v6
	s_waitcnt lgkmcnt(0)
	v_cndmask_b32_e32 v5, 0, v5, vcc
	v_cmp_gt_u32_e32 vcc, 6, v4
	v_add_u32_e32 v3, v5, v3
	v_cndmask_b32_e64 v5, 0, 2, vcc
	v_add_lshl_u32 v1, v5, v1, 2
	ds_bpermute_b32 v1, v1, v3
	v_add_u32_e32 v5, 2, v4
	v_cmp_gt_u32_e32 vcc, s4, v5
	v_or_b32_e32 v2, 16, v2
	s_waitcnt lgkmcnt(0)
	v_cndmask_b32_e32 v1, 0, v1, vcc
	v_add_u32_e32 v1, v3, v1
	ds_bpermute_b32 v2, v2, v1
	v_add_u32_e32 v3, 4, v4
	v_cmp_gt_u32_e32 vcc, s4, v3
	s_waitcnt lgkmcnt(0)
	v_cndmask_b32_e32 v2, 0, v2, vcc
	v_add_u32_e32 v3, v1, v2
.LBB77_4:
	s_or_b64 exec, exec, s[0:1]
	s_mov_b32 s7, 0
	v_cmp_eq_u32_e32 vcc, 0, v0
	s_and_saveexec_b64 s[0:1], vcc
	s_cbranch_execz .LBB77_6
; %bb.5:
	s_lshl_b64 s[0:1], s[6:7], 2
	s_add_u32 s0, s2, s0
	s_addc_u32 s1, s3, s1
	v_mov_b32_e32 v0, 0
	global_store_dword v0, v3, s[0:1]
.LBB77_6:
	s_endpgm
	.section	.rodata,"a",@progbits
	.p2align	6, 0x0
	.amdhsa_kernel _Z19reduce_valid_kernelILj512ELN6hipcub20BlockReduceAlgorithmE0EiEvPT1_S3_j
		.amdhsa_group_segment_fixed_size 32
		.amdhsa_private_segment_fixed_size 0
		.amdhsa_kernarg_size 20
		.amdhsa_user_sgpr_count 6
		.amdhsa_user_sgpr_private_segment_buffer 1
		.amdhsa_user_sgpr_dispatch_ptr 0
		.amdhsa_user_sgpr_queue_ptr 0
		.amdhsa_user_sgpr_kernarg_segment_ptr 1
		.amdhsa_user_sgpr_dispatch_id 0
		.amdhsa_user_sgpr_flat_scratch_init 0
		.amdhsa_user_sgpr_private_segment_size 0
		.amdhsa_uses_dynamic_stack 0
		.amdhsa_system_sgpr_private_segment_wavefront_offset 0
		.amdhsa_system_sgpr_workgroup_id_x 1
		.amdhsa_system_sgpr_workgroup_id_y 0
		.amdhsa_system_sgpr_workgroup_id_z 0
		.amdhsa_system_sgpr_workgroup_info 0
		.amdhsa_system_vgpr_workitem_id 0
		.amdhsa_next_free_vgpr 11
		.amdhsa_next_free_sgpr 8
		.amdhsa_reserve_vcc 1
		.amdhsa_reserve_flat_scratch 0
		.amdhsa_float_round_mode_32 0
		.amdhsa_float_round_mode_16_64 0
		.amdhsa_float_denorm_mode_32 3
		.amdhsa_float_denorm_mode_16_64 3
		.amdhsa_dx10_clamp 1
		.amdhsa_ieee_mode 1
		.amdhsa_fp16_overflow 0
		.amdhsa_exception_fp_ieee_invalid_op 0
		.amdhsa_exception_fp_denorm_src 0
		.amdhsa_exception_fp_ieee_div_zero 0
		.amdhsa_exception_fp_ieee_overflow 0
		.amdhsa_exception_fp_ieee_underflow 0
		.amdhsa_exception_fp_ieee_inexact 0
		.amdhsa_exception_int_div_zero 0
	.end_amdhsa_kernel
	.section	.text._Z19reduce_valid_kernelILj512ELN6hipcub20BlockReduceAlgorithmE0EiEvPT1_S3_j,"axG",@progbits,_Z19reduce_valid_kernelILj512ELN6hipcub20BlockReduceAlgorithmE0EiEvPT1_S3_j,comdat
.Lfunc_end77:
	.size	_Z19reduce_valid_kernelILj512ELN6hipcub20BlockReduceAlgorithmE0EiEvPT1_S3_j, .Lfunc_end77-_Z19reduce_valid_kernelILj512ELN6hipcub20BlockReduceAlgorithmE0EiEvPT1_S3_j
                                        ; -- End function
	.set _Z19reduce_valid_kernelILj512ELN6hipcub20BlockReduceAlgorithmE0EiEvPT1_S3_j.num_vgpr, 11
	.set _Z19reduce_valid_kernelILj512ELN6hipcub20BlockReduceAlgorithmE0EiEvPT1_S3_j.num_agpr, 0
	.set _Z19reduce_valid_kernelILj512ELN6hipcub20BlockReduceAlgorithmE0EiEvPT1_S3_j.numbered_sgpr, 8
	.set _Z19reduce_valid_kernelILj512ELN6hipcub20BlockReduceAlgorithmE0EiEvPT1_S3_j.num_named_barrier, 0
	.set _Z19reduce_valid_kernelILj512ELN6hipcub20BlockReduceAlgorithmE0EiEvPT1_S3_j.private_seg_size, 0
	.set _Z19reduce_valid_kernelILj512ELN6hipcub20BlockReduceAlgorithmE0EiEvPT1_S3_j.uses_vcc, 1
	.set _Z19reduce_valid_kernelILj512ELN6hipcub20BlockReduceAlgorithmE0EiEvPT1_S3_j.uses_flat_scratch, 0
	.set _Z19reduce_valid_kernelILj512ELN6hipcub20BlockReduceAlgorithmE0EiEvPT1_S3_j.has_dyn_sized_stack, 0
	.set _Z19reduce_valid_kernelILj512ELN6hipcub20BlockReduceAlgorithmE0EiEvPT1_S3_j.has_recursion, 0
	.set _Z19reduce_valid_kernelILj512ELN6hipcub20BlockReduceAlgorithmE0EiEvPT1_S3_j.has_indirect_call, 0
	.section	.AMDGPU.csdata,"",@progbits
; Kernel info:
; codeLenInByte = 612
; TotalNumSgprs: 12
; NumVgprs: 11
; ScratchSize: 0
; MemoryBound: 0
; FloatMode: 240
; IeeeMode: 1
; LDSByteSize: 32 bytes/workgroup (compile time only)
; SGPRBlocks: 1
; VGPRBlocks: 2
; NumSGPRsForWavesPerEU: 12
; NumVGPRsForWavesPerEU: 11
; Occupancy: 10
; WaveLimiterHint : 0
; COMPUTE_PGM_RSRC2:SCRATCH_EN: 0
; COMPUTE_PGM_RSRC2:USER_SGPR: 6
; COMPUTE_PGM_RSRC2:TRAP_HANDLER: 0
; COMPUTE_PGM_RSRC2:TGID_X_EN: 1
; COMPUTE_PGM_RSRC2:TGID_Y_EN: 0
; COMPUTE_PGM_RSRC2:TGID_Z_EN: 0
; COMPUTE_PGM_RSRC2:TIDIG_COMP_CNT: 0
	.section	.text._Z19reduce_valid_kernelILj256ELN6hipcub20BlockReduceAlgorithmE0EiEvPT1_S3_j,"axG",@progbits,_Z19reduce_valid_kernelILj256ELN6hipcub20BlockReduceAlgorithmE0EiEvPT1_S3_j,comdat
	.protected	_Z19reduce_valid_kernelILj256ELN6hipcub20BlockReduceAlgorithmE0EiEvPT1_S3_j ; -- Begin function _Z19reduce_valid_kernelILj256ELN6hipcub20BlockReduceAlgorithmE0EiEvPT1_S3_j
	.globl	_Z19reduce_valid_kernelILj256ELN6hipcub20BlockReduceAlgorithmE0EiEvPT1_S3_j
	.p2align	8
	.type	_Z19reduce_valid_kernelILj256ELN6hipcub20BlockReduceAlgorithmE0EiEvPT1_S3_j,@function
_Z19reduce_valid_kernelILj256ELN6hipcub20BlockReduceAlgorithmE0EiEvPT1_S3_j: ; @_Z19reduce_valid_kernelILj256ELN6hipcub20BlockReduceAlgorithmE0EiEvPT1_S3_j
; %bb.0:
	s_load_dwordx4 s[0:3], s[4:5], 0x0
	s_load_dword s7, s[4:5], 0x10
	v_lshl_or_b32 v1, s6, 8, v0
	v_mov_b32_e32 v2, 0
	v_lshlrev_b64 v[1:2], 2, v[1:2]
	s_waitcnt lgkmcnt(0)
	v_mov_b32_e32 v3, s1
	v_add_co_u32_e32 v1, vcc, s0, v1
	v_addc_co_u32_e32 v2, vcc, v3, v2, vcc
	global_load_dword v2, v[1:2], off
	v_mbcnt_lo_u32_b32 v1, -1, 0
	v_mbcnt_hi_u32_b32 v1, -1, v1
	v_and_b32_e32 v4, 63, v1
	v_cmp_ne_u32_e32 vcc, 63, v4
	v_addc_co_u32_e32 v9, vcc, 0, v1, vcc
	v_lshlrev_b32_e32 v9, 2, v9
	v_and_b32_e32 v3, 0xc0, v0
	v_add_u32_e32 v5, 1, v1
	v_cmp_gt_u32_e32 vcc, 62, v4
	v_sub_u32_e64 v3, s7, v3 clamp
	v_cndmask_b32_e64 v10, 0, 2, vcc
	v_cmp_lt_u32_e32 vcc, v5, v3
	v_add_lshl_u32 v10, v10, v1, 2
	v_add_u32_e32 v6, 2, v1
	v_add_u32_e32 v7, 4, v1
	;; [unrolled: 1-line block ×3, first 2 shown]
	s_waitcnt vmcnt(0)
	ds_bpermute_b32 v9, v9, v2
	s_waitcnt lgkmcnt(0)
	v_cndmask_b32_e32 v5, 0, v9, vcc
	v_add_u32_e32 v2, v5, v2
	ds_bpermute_b32 v5, v10, v2
	v_cmp_gt_u32_e32 vcc, 60, v4
	v_cndmask_b32_e64 v9, 0, 4, vcc
	v_cmp_lt_u32_e32 vcc, v6, v3
	v_add_lshl_u32 v9, v9, v1, 2
	s_waitcnt lgkmcnt(0)
	v_cndmask_b32_e32 v5, 0, v5, vcc
	v_add_u32_e32 v2, v2, v5
	ds_bpermute_b32 v5, v9, v2
	v_cmp_gt_u32_e32 vcc, 56, v4
	v_cndmask_b32_e64 v6, 0, 8, vcc
	v_cmp_lt_u32_e32 vcc, v7, v3
	v_add_lshl_u32 v6, v6, v1, 2
	s_waitcnt lgkmcnt(0)
	v_cndmask_b32_e32 v5, 0, v5, vcc
	v_add_u32_e32 v2, v2, v5
	ds_bpermute_b32 v5, v6, v2
	v_cmp_gt_u32_e32 vcc, 48, v4
	v_cndmask_b32_e64 v4, 0, 16, vcc
	v_cmp_lt_u32_e32 vcc, v8, v3
	v_add_lshl_u32 v4, v4, v1, 2
	s_waitcnt lgkmcnt(0)
	v_cndmask_b32_e32 v5, 0, v5, vcc
	v_add_u32_e32 v5, v2, v5
	ds_bpermute_b32 v4, v4, v5
	v_add_u32_e32 v6, 16, v1
	v_cmp_lt_u32_e32 vcc, v6, v3
	v_lshlrev_b32_e32 v2, 2, v1
	v_or_b32_e32 v7, 0x80, v2
	s_waitcnt lgkmcnt(0)
	v_cndmask_b32_e32 v4, 0, v4, vcc
	v_add_u32_e32 v4, v5, v4
	ds_bpermute_b32 v5, v7, v4
	v_add_u32_e32 v6, 32, v1
	v_cmp_lt_u32_e32 vcc, v6, v3
	s_waitcnt lgkmcnt(0)
	v_cndmask_b32_e32 v3, 0, v5, vcc
	v_add_u32_e32 v3, v4, v3
	v_cmp_eq_u32_e32 vcc, 0, v1
	s_and_saveexec_b64 s[0:1], vcc
; %bb.1:
	v_lshrrev_b32_e32 v4, 4, v0
	v_and_b32_e32 v4, 12, v4
	ds_write_b32 v4, v3
; %bb.2:
	s_or_b64 exec, exec, s[0:1]
	v_cmp_gt_u32_e32 vcc, 4, v0
	s_waitcnt lgkmcnt(0)
	s_barrier
	s_and_saveexec_b64 s[0:1], vcc
	s_cbranch_execz .LBB78_4
; %bb.3:
	ds_read_b32 v3, v2
	v_and_b32_e32 v4, 3, v1
	v_cmp_ne_u32_e32 vcc, 3, v4
	v_addc_co_u32_e32 v1, vcc, 0, v1, vcc
	v_lshlrev_b32_e32 v1, 2, v1
	s_waitcnt lgkmcnt(0)
	ds_bpermute_b32 v1, v1, v3
	s_add_i32 s7, s7, 63
	s_lshr_b32 s4, s7, 6
	v_add_u32_e32 v5, 1, v4
	v_cmp_gt_u32_e32 vcc, s4, v5
	s_waitcnt lgkmcnt(0)
	v_cndmask_b32_e32 v1, 0, v1, vcc
	v_add_u32_e32 v1, v1, v3
	v_or_b32_e32 v2, 8, v2
	ds_bpermute_b32 v2, v2, v1
	v_add_u32_e32 v3, 2, v4
	v_cmp_gt_u32_e32 vcc, s4, v3
	s_waitcnt lgkmcnt(0)
	v_cndmask_b32_e32 v2, 0, v2, vcc
	v_add_u32_e32 v3, v1, v2
.LBB78_4:
	s_or_b64 exec, exec, s[0:1]
	s_mov_b32 s7, 0
	v_cmp_eq_u32_e32 vcc, 0, v0
	s_and_saveexec_b64 s[0:1], vcc
	s_cbranch_execz .LBB78_6
; %bb.5:
	s_lshl_b64 s[0:1], s[6:7], 2
	s_add_u32 s0, s2, s0
	s_addc_u32 s1, s3, s1
	v_mov_b32_e32 v0, 0
	global_store_dword v0, v3, s[0:1]
.LBB78_6:
	s_endpgm
	.section	.rodata,"a",@progbits
	.p2align	6, 0x0
	.amdhsa_kernel _Z19reduce_valid_kernelILj256ELN6hipcub20BlockReduceAlgorithmE0EiEvPT1_S3_j
		.amdhsa_group_segment_fixed_size 16
		.amdhsa_private_segment_fixed_size 0
		.amdhsa_kernarg_size 20
		.amdhsa_user_sgpr_count 6
		.amdhsa_user_sgpr_private_segment_buffer 1
		.amdhsa_user_sgpr_dispatch_ptr 0
		.amdhsa_user_sgpr_queue_ptr 0
		.amdhsa_user_sgpr_kernarg_segment_ptr 1
		.amdhsa_user_sgpr_dispatch_id 0
		.amdhsa_user_sgpr_flat_scratch_init 0
		.amdhsa_user_sgpr_private_segment_size 0
		.amdhsa_uses_dynamic_stack 0
		.amdhsa_system_sgpr_private_segment_wavefront_offset 0
		.amdhsa_system_sgpr_workgroup_id_x 1
		.amdhsa_system_sgpr_workgroup_id_y 0
		.amdhsa_system_sgpr_workgroup_id_z 0
		.amdhsa_system_sgpr_workgroup_info 0
		.amdhsa_system_vgpr_workitem_id 0
		.amdhsa_next_free_vgpr 11
		.amdhsa_next_free_sgpr 8
		.amdhsa_reserve_vcc 1
		.amdhsa_reserve_flat_scratch 0
		.amdhsa_float_round_mode_32 0
		.amdhsa_float_round_mode_16_64 0
		.amdhsa_float_denorm_mode_32 3
		.amdhsa_float_denorm_mode_16_64 3
		.amdhsa_dx10_clamp 1
		.amdhsa_ieee_mode 1
		.amdhsa_fp16_overflow 0
		.amdhsa_exception_fp_ieee_invalid_op 0
		.amdhsa_exception_fp_denorm_src 0
		.amdhsa_exception_fp_ieee_div_zero 0
		.amdhsa_exception_fp_ieee_overflow 0
		.amdhsa_exception_fp_ieee_underflow 0
		.amdhsa_exception_fp_ieee_inexact 0
		.amdhsa_exception_int_div_zero 0
	.end_amdhsa_kernel
	.section	.text._Z19reduce_valid_kernelILj256ELN6hipcub20BlockReduceAlgorithmE0EiEvPT1_S3_j,"axG",@progbits,_Z19reduce_valid_kernelILj256ELN6hipcub20BlockReduceAlgorithmE0EiEvPT1_S3_j,comdat
.Lfunc_end78:
	.size	_Z19reduce_valid_kernelILj256ELN6hipcub20BlockReduceAlgorithmE0EiEvPT1_S3_j, .Lfunc_end78-_Z19reduce_valid_kernelILj256ELN6hipcub20BlockReduceAlgorithmE0EiEvPT1_S3_j
                                        ; -- End function
	.set _Z19reduce_valid_kernelILj256ELN6hipcub20BlockReduceAlgorithmE0EiEvPT1_S3_j.num_vgpr, 11
	.set _Z19reduce_valid_kernelILj256ELN6hipcub20BlockReduceAlgorithmE0EiEvPT1_S3_j.num_agpr, 0
	.set _Z19reduce_valid_kernelILj256ELN6hipcub20BlockReduceAlgorithmE0EiEvPT1_S3_j.numbered_sgpr, 8
	.set _Z19reduce_valid_kernelILj256ELN6hipcub20BlockReduceAlgorithmE0EiEvPT1_S3_j.num_named_barrier, 0
	.set _Z19reduce_valid_kernelILj256ELN6hipcub20BlockReduceAlgorithmE0EiEvPT1_S3_j.private_seg_size, 0
	.set _Z19reduce_valid_kernelILj256ELN6hipcub20BlockReduceAlgorithmE0EiEvPT1_S3_j.uses_vcc, 1
	.set _Z19reduce_valid_kernelILj256ELN6hipcub20BlockReduceAlgorithmE0EiEvPT1_S3_j.uses_flat_scratch, 0
	.set _Z19reduce_valid_kernelILj256ELN6hipcub20BlockReduceAlgorithmE0EiEvPT1_S3_j.has_dyn_sized_stack, 0
	.set _Z19reduce_valid_kernelILj256ELN6hipcub20BlockReduceAlgorithmE0EiEvPT1_S3_j.has_recursion, 0
	.set _Z19reduce_valid_kernelILj256ELN6hipcub20BlockReduceAlgorithmE0EiEvPT1_S3_j.has_indirect_call, 0
	.section	.AMDGPU.csdata,"",@progbits
; Kernel info:
; codeLenInByte = 564
; TotalNumSgprs: 12
; NumVgprs: 11
; ScratchSize: 0
; MemoryBound: 0
; FloatMode: 240
; IeeeMode: 1
; LDSByteSize: 16 bytes/workgroup (compile time only)
; SGPRBlocks: 1
; VGPRBlocks: 2
; NumSGPRsForWavesPerEU: 12
; NumVGPRsForWavesPerEU: 11
; Occupancy: 10
; WaveLimiterHint : 0
; COMPUTE_PGM_RSRC2:SCRATCH_EN: 0
; COMPUTE_PGM_RSRC2:USER_SGPR: 6
; COMPUTE_PGM_RSRC2:TRAP_HANDLER: 0
; COMPUTE_PGM_RSRC2:TGID_X_EN: 1
; COMPUTE_PGM_RSRC2:TGID_Y_EN: 0
; COMPUTE_PGM_RSRC2:TGID_Z_EN: 0
; COMPUTE_PGM_RSRC2:TIDIG_COMP_CNT: 0
	.section	.text._Z19reduce_valid_kernelILj192ELN6hipcub20BlockReduceAlgorithmE0EiEvPT1_S3_j,"axG",@progbits,_Z19reduce_valid_kernelILj192ELN6hipcub20BlockReduceAlgorithmE0EiEvPT1_S3_j,comdat
	.protected	_Z19reduce_valid_kernelILj192ELN6hipcub20BlockReduceAlgorithmE0EiEvPT1_S3_j ; -- Begin function _Z19reduce_valid_kernelILj192ELN6hipcub20BlockReduceAlgorithmE0EiEvPT1_S3_j
	.globl	_Z19reduce_valid_kernelILj192ELN6hipcub20BlockReduceAlgorithmE0EiEvPT1_S3_j
	.p2align	8
	.type	_Z19reduce_valid_kernelILj192ELN6hipcub20BlockReduceAlgorithmE0EiEvPT1_S3_j,@function
_Z19reduce_valid_kernelILj192ELN6hipcub20BlockReduceAlgorithmE0EiEvPT1_S3_j: ; @_Z19reduce_valid_kernelILj192ELN6hipcub20BlockReduceAlgorithmE0EiEvPT1_S3_j
; %bb.0:
	s_load_dwordx4 s[0:3], s[4:5], 0x0
	s_load_dword s7, s[4:5], 0x10
	s_mul_i32 s4, s6, 0xc0
	v_add_u32_e32 v1, s4, v0
	v_mov_b32_e32 v2, 0
	v_lshlrev_b64 v[1:2], 2, v[1:2]
	s_waitcnt lgkmcnt(0)
	v_mov_b32_e32 v3, s1
	v_add_co_u32_e32 v1, vcc, s0, v1
	v_addc_co_u32_e32 v2, vcc, v3, v2, vcc
	global_load_dword v2, v[1:2], off
	v_mbcnt_lo_u32_b32 v1, -1, 0
	v_mbcnt_hi_u32_b32 v1, -1, v1
	v_and_b32_e32 v4, 63, v1
	v_cmp_ne_u32_e32 vcc, 63, v4
	v_addc_co_u32_e32 v9, vcc, 0, v1, vcc
	v_lshlrev_b32_e32 v9, 2, v9
	v_and_b32_e32 v3, 0xc0, v0
	v_add_u32_e32 v5, 1, v1
	v_cmp_gt_u32_e32 vcc, 62, v4
	v_sub_u32_e64 v3, s7, v3 clamp
	v_cndmask_b32_e64 v10, 0, 2, vcc
	v_cmp_lt_u32_e32 vcc, v5, v3
	v_add_lshl_u32 v10, v10, v1, 2
	v_add_u32_e32 v6, 2, v1
	v_add_u32_e32 v7, 4, v1
	;; [unrolled: 1-line block ×3, first 2 shown]
	s_waitcnt vmcnt(0)
	ds_bpermute_b32 v9, v9, v2
	s_waitcnt lgkmcnt(0)
	v_cndmask_b32_e32 v5, 0, v9, vcc
	v_add_u32_e32 v2, v5, v2
	ds_bpermute_b32 v5, v10, v2
	v_cmp_gt_u32_e32 vcc, 60, v4
	v_cndmask_b32_e64 v9, 0, 4, vcc
	v_cmp_lt_u32_e32 vcc, v6, v3
	v_add_lshl_u32 v9, v9, v1, 2
	s_waitcnt lgkmcnt(0)
	v_cndmask_b32_e32 v5, 0, v5, vcc
	v_add_u32_e32 v2, v2, v5
	ds_bpermute_b32 v5, v9, v2
	v_cmp_gt_u32_e32 vcc, 56, v4
	v_cndmask_b32_e64 v6, 0, 8, vcc
	v_cmp_lt_u32_e32 vcc, v7, v3
	v_add_lshl_u32 v6, v6, v1, 2
	;; [unrolled: 8-line block ×3, first 2 shown]
	s_waitcnt lgkmcnt(0)
	v_cndmask_b32_e32 v5, 0, v5, vcc
	v_add_u32_e32 v5, v2, v5
	ds_bpermute_b32 v4, v4, v5
	v_add_u32_e32 v6, 16, v1
	v_cmp_lt_u32_e32 vcc, v6, v3
	v_lshlrev_b32_e32 v2, 2, v1
	v_or_b32_e32 v7, 0x80, v2
	s_waitcnt lgkmcnt(0)
	v_cndmask_b32_e32 v4, 0, v4, vcc
	v_add_u32_e32 v4, v5, v4
	ds_bpermute_b32 v5, v7, v4
	v_add_u32_e32 v6, 32, v1
	v_cmp_lt_u32_e32 vcc, v6, v3
	s_waitcnt lgkmcnt(0)
	v_cndmask_b32_e32 v3, 0, v5, vcc
	v_add_u32_e32 v3, v4, v3
	v_cmp_eq_u32_e32 vcc, 0, v1
	s_and_saveexec_b64 s[0:1], vcc
; %bb.1:
	v_lshrrev_b32_e32 v4, 4, v0
	v_and_b32_e32 v4, 12, v4
	ds_write_b32 v4, v3
; %bb.2:
	s_or_b64 exec, exec, s[0:1]
	v_cmp_gt_u32_e32 vcc, 3, v0
	s_waitcnt lgkmcnt(0)
	s_barrier
	s_and_saveexec_b64 s[0:1], vcc
	s_cbranch_execz .LBB79_4
; %bb.3:
	ds_read_b32 v3, v2
	v_and_b32_e32 v4, 3, v1
	v_cmp_ne_u32_e32 vcc, 3, v4
	v_addc_co_u32_e32 v1, vcc, 0, v1, vcc
	v_lshlrev_b32_e32 v1, 2, v1
	s_waitcnt lgkmcnt(0)
	ds_bpermute_b32 v1, v1, v3
	s_add_i32 s7, s7, 63
	s_lshr_b32 s4, s7, 6
	v_add_u32_e32 v5, 1, v4
	v_cmp_gt_u32_e32 vcc, s4, v5
	s_waitcnt lgkmcnt(0)
	v_cndmask_b32_e32 v1, 0, v1, vcc
	v_add_u32_e32 v1, v1, v3
	v_or_b32_e32 v2, 8, v2
	ds_bpermute_b32 v2, v2, v1
	v_add_u32_e32 v3, 2, v4
	v_cmp_gt_u32_e32 vcc, s4, v3
	s_waitcnt lgkmcnt(0)
	v_cndmask_b32_e32 v2, 0, v2, vcc
	v_add_u32_e32 v3, v1, v2
.LBB79_4:
	s_or_b64 exec, exec, s[0:1]
	s_mov_b32 s7, 0
	v_cmp_eq_u32_e32 vcc, 0, v0
	s_and_saveexec_b64 s[0:1], vcc
	s_cbranch_execz .LBB79_6
; %bb.5:
	s_lshl_b64 s[0:1], s[6:7], 2
	s_add_u32 s0, s2, s0
	s_addc_u32 s1, s3, s1
	v_mov_b32_e32 v0, 0
	global_store_dword v0, v3, s[0:1]
.LBB79_6:
	s_endpgm
	.section	.rodata,"a",@progbits
	.p2align	6, 0x0
	.amdhsa_kernel _Z19reduce_valid_kernelILj192ELN6hipcub20BlockReduceAlgorithmE0EiEvPT1_S3_j
		.amdhsa_group_segment_fixed_size 12
		.amdhsa_private_segment_fixed_size 0
		.amdhsa_kernarg_size 20
		.amdhsa_user_sgpr_count 6
		.amdhsa_user_sgpr_private_segment_buffer 1
		.amdhsa_user_sgpr_dispatch_ptr 0
		.amdhsa_user_sgpr_queue_ptr 0
		.amdhsa_user_sgpr_kernarg_segment_ptr 1
		.amdhsa_user_sgpr_dispatch_id 0
		.amdhsa_user_sgpr_flat_scratch_init 0
		.amdhsa_user_sgpr_private_segment_size 0
		.amdhsa_uses_dynamic_stack 0
		.amdhsa_system_sgpr_private_segment_wavefront_offset 0
		.amdhsa_system_sgpr_workgroup_id_x 1
		.amdhsa_system_sgpr_workgroup_id_y 0
		.amdhsa_system_sgpr_workgroup_id_z 0
		.amdhsa_system_sgpr_workgroup_info 0
		.amdhsa_system_vgpr_workitem_id 0
		.amdhsa_next_free_vgpr 11
		.amdhsa_next_free_sgpr 8
		.amdhsa_reserve_vcc 1
		.amdhsa_reserve_flat_scratch 0
		.amdhsa_float_round_mode_32 0
		.amdhsa_float_round_mode_16_64 0
		.amdhsa_float_denorm_mode_32 3
		.amdhsa_float_denorm_mode_16_64 3
		.amdhsa_dx10_clamp 1
		.amdhsa_ieee_mode 1
		.amdhsa_fp16_overflow 0
		.amdhsa_exception_fp_ieee_invalid_op 0
		.amdhsa_exception_fp_denorm_src 0
		.amdhsa_exception_fp_ieee_div_zero 0
		.amdhsa_exception_fp_ieee_overflow 0
		.amdhsa_exception_fp_ieee_underflow 0
		.amdhsa_exception_fp_ieee_inexact 0
		.amdhsa_exception_int_div_zero 0
	.end_amdhsa_kernel
	.section	.text._Z19reduce_valid_kernelILj192ELN6hipcub20BlockReduceAlgorithmE0EiEvPT1_S3_j,"axG",@progbits,_Z19reduce_valid_kernelILj192ELN6hipcub20BlockReduceAlgorithmE0EiEvPT1_S3_j,comdat
.Lfunc_end79:
	.size	_Z19reduce_valid_kernelILj192ELN6hipcub20BlockReduceAlgorithmE0EiEvPT1_S3_j, .Lfunc_end79-_Z19reduce_valid_kernelILj192ELN6hipcub20BlockReduceAlgorithmE0EiEvPT1_S3_j
                                        ; -- End function
	.set _Z19reduce_valid_kernelILj192ELN6hipcub20BlockReduceAlgorithmE0EiEvPT1_S3_j.num_vgpr, 11
	.set _Z19reduce_valid_kernelILj192ELN6hipcub20BlockReduceAlgorithmE0EiEvPT1_S3_j.num_agpr, 0
	.set _Z19reduce_valid_kernelILj192ELN6hipcub20BlockReduceAlgorithmE0EiEvPT1_S3_j.numbered_sgpr, 8
	.set _Z19reduce_valid_kernelILj192ELN6hipcub20BlockReduceAlgorithmE0EiEvPT1_S3_j.num_named_barrier, 0
	.set _Z19reduce_valid_kernelILj192ELN6hipcub20BlockReduceAlgorithmE0EiEvPT1_S3_j.private_seg_size, 0
	.set _Z19reduce_valid_kernelILj192ELN6hipcub20BlockReduceAlgorithmE0EiEvPT1_S3_j.uses_vcc, 1
	.set _Z19reduce_valid_kernelILj192ELN6hipcub20BlockReduceAlgorithmE0EiEvPT1_S3_j.uses_flat_scratch, 0
	.set _Z19reduce_valid_kernelILj192ELN6hipcub20BlockReduceAlgorithmE0EiEvPT1_S3_j.has_dyn_sized_stack, 0
	.set _Z19reduce_valid_kernelILj192ELN6hipcub20BlockReduceAlgorithmE0EiEvPT1_S3_j.has_recursion, 0
	.set _Z19reduce_valid_kernelILj192ELN6hipcub20BlockReduceAlgorithmE0EiEvPT1_S3_j.has_indirect_call, 0
	.section	.AMDGPU.csdata,"",@progbits
; Kernel info:
; codeLenInByte = 568
; TotalNumSgprs: 12
; NumVgprs: 11
; ScratchSize: 0
; MemoryBound: 0
; FloatMode: 240
; IeeeMode: 1
; LDSByteSize: 12 bytes/workgroup (compile time only)
; SGPRBlocks: 1
; VGPRBlocks: 2
; NumSGPRsForWavesPerEU: 12
; NumVGPRsForWavesPerEU: 11
; Occupancy: 10
; WaveLimiterHint : 0
; COMPUTE_PGM_RSRC2:SCRATCH_EN: 0
; COMPUTE_PGM_RSRC2:USER_SGPR: 6
; COMPUTE_PGM_RSRC2:TRAP_HANDLER: 0
; COMPUTE_PGM_RSRC2:TGID_X_EN: 1
; COMPUTE_PGM_RSRC2:TGID_Y_EN: 0
; COMPUTE_PGM_RSRC2:TGID_Z_EN: 0
; COMPUTE_PGM_RSRC2:TIDIG_COMP_CNT: 0
	.section	.text._Z19reduce_valid_kernelILj128ELN6hipcub20BlockReduceAlgorithmE0EiEvPT1_S3_j,"axG",@progbits,_Z19reduce_valid_kernelILj128ELN6hipcub20BlockReduceAlgorithmE0EiEvPT1_S3_j,comdat
	.protected	_Z19reduce_valid_kernelILj128ELN6hipcub20BlockReduceAlgorithmE0EiEvPT1_S3_j ; -- Begin function _Z19reduce_valid_kernelILj128ELN6hipcub20BlockReduceAlgorithmE0EiEvPT1_S3_j
	.globl	_Z19reduce_valid_kernelILj128ELN6hipcub20BlockReduceAlgorithmE0EiEvPT1_S3_j
	.p2align	8
	.type	_Z19reduce_valid_kernelILj128ELN6hipcub20BlockReduceAlgorithmE0EiEvPT1_S3_j,@function
_Z19reduce_valid_kernelILj128ELN6hipcub20BlockReduceAlgorithmE0EiEvPT1_S3_j: ; @_Z19reduce_valid_kernelILj128ELN6hipcub20BlockReduceAlgorithmE0EiEvPT1_S3_j
; %bb.0:
	s_load_dwordx4 s[0:3], s[4:5], 0x0
	s_load_dword s7, s[4:5], 0x10
	v_lshl_or_b32 v1, s6, 7, v0
	v_mov_b32_e32 v2, 0
	v_lshlrev_b64 v[1:2], 2, v[1:2]
	s_waitcnt lgkmcnt(0)
	v_mov_b32_e32 v3, s1
	v_add_co_u32_e32 v1, vcc, s0, v1
	v_addc_co_u32_e32 v2, vcc, v3, v2, vcc
	global_load_dword v2, v[1:2], off
	v_mbcnt_lo_u32_b32 v1, -1, 0
	v_mbcnt_hi_u32_b32 v1, -1, v1
	v_and_b32_e32 v4, 63, v1
	v_cmp_ne_u32_e32 vcc, 63, v4
	v_addc_co_u32_e32 v9, vcc, 0, v1, vcc
	v_lshlrev_b32_e32 v9, 2, v9
	v_and_b32_e32 v3, 64, v0
	v_add_u32_e32 v5, 1, v1
	v_cmp_gt_u32_e32 vcc, 62, v4
	v_sub_u32_e64 v11, s7, v3 clamp
	v_cndmask_b32_e64 v10, 0, 2, vcc
	v_cmp_lt_u32_e32 vcc, v5, v11
	v_add_lshl_u32 v10, v10, v1, 2
	v_add_u32_e32 v6, 2, v1
	v_add_u32_e32 v7, 4, v1
	;; [unrolled: 1-line block ×3, first 2 shown]
	s_waitcnt vmcnt(0)
	ds_bpermute_b32 v9, v9, v2
	s_waitcnt lgkmcnt(0)
	v_cndmask_b32_e32 v3, 0, v9, vcc
	v_add_u32_e32 v2, v3, v2
	ds_bpermute_b32 v3, v10, v2
	v_cmp_gt_u32_e32 vcc, 60, v4
	v_cndmask_b32_e64 v5, 0, 4, vcc
	v_cmp_lt_u32_e32 vcc, v6, v11
	v_add_lshl_u32 v5, v5, v1, 2
	s_waitcnt lgkmcnt(0)
	v_cndmask_b32_e32 v3, 0, v3, vcc
	v_add_u32_e32 v2, v2, v3
	ds_bpermute_b32 v3, v5, v2
	v_cmp_gt_u32_e32 vcc, 56, v4
	v_cndmask_b32_e64 v5, 0, 8, vcc
	v_cmp_lt_u32_e32 vcc, v7, v11
	v_add_lshl_u32 v5, v5, v1, 2
	;; [unrolled: 8-line block ×3, first 2 shown]
	s_waitcnt lgkmcnt(0)
	v_cndmask_b32_e32 v3, 0, v3, vcc
	v_add_u32_e32 v2, v2, v3
	ds_bpermute_b32 v4, v4, v2
	v_add_u32_e32 v5, 16, v1
	v_cmp_lt_u32_e32 vcc, v5, v11
	v_lshlrev_b32_e32 v3, 2, v1
	v_or_b32_e32 v6, 0x80, v3
	s_waitcnt lgkmcnt(0)
	v_cndmask_b32_e32 v4, 0, v4, vcc
	v_add_u32_e32 v2, v2, v4
	ds_bpermute_b32 v4, v6, v2
	v_add_u32_e32 v5, 32, v1
	v_cmp_lt_u32_e32 vcc, v5, v11
	s_waitcnt lgkmcnt(0)
	v_cndmask_b32_e32 v4, 0, v4, vcc
	v_add_u32_e32 v2, v2, v4
	v_cmp_eq_u32_e32 vcc, 0, v1
	s_and_saveexec_b64 s[0:1], vcc
; %bb.1:
	v_lshrrev_b32_e32 v4, 4, v0
	v_and_b32_e32 v4, 4, v4
	ds_write_b32 v4, v2
; %bb.2:
	s_or_b64 exec, exec, s[0:1]
	v_cmp_gt_u32_e32 vcc, 2, v0
	s_waitcnt lgkmcnt(0)
	s_barrier
	s_and_saveexec_b64 s[0:1], vcc
	s_cbranch_execz .LBB80_4
; %bb.3:
	ds_read_b32 v2, v3
	v_or_b32_e32 v3, 4, v3
	v_and_b32_e32 v1, 1, v1
	s_add_i32 s7, s7, 63
	v_add_u32_e32 v1, 1, v1
	s_waitcnt lgkmcnt(0)
	ds_bpermute_b32 v3, v3, v2
	s_lshr_b32 s4, s7, 6
	v_cmp_gt_u32_e32 vcc, s4, v1
	s_waitcnt lgkmcnt(0)
	v_cndmask_b32_e32 v1, 0, v3, vcc
	v_add_u32_e32 v2, v1, v2
.LBB80_4:
	s_or_b64 exec, exec, s[0:1]
	s_mov_b32 s7, 0
	v_cmp_eq_u32_e32 vcc, 0, v0
	s_and_saveexec_b64 s[0:1], vcc
	s_cbranch_execz .LBB80_6
; %bb.5:
	s_lshl_b64 s[0:1], s[6:7], 2
	s_add_u32 s0, s2, s0
	s_addc_u32 s1, s3, s1
	v_mov_b32_e32 v0, 0
	global_store_dword v0, v2, s[0:1]
.LBB80_6:
	s_endpgm
	.section	.rodata,"a",@progbits
	.p2align	6, 0x0
	.amdhsa_kernel _Z19reduce_valid_kernelILj128ELN6hipcub20BlockReduceAlgorithmE0EiEvPT1_S3_j
		.amdhsa_group_segment_fixed_size 8
		.amdhsa_private_segment_fixed_size 0
		.amdhsa_kernarg_size 20
		.amdhsa_user_sgpr_count 6
		.amdhsa_user_sgpr_private_segment_buffer 1
		.amdhsa_user_sgpr_dispatch_ptr 0
		.amdhsa_user_sgpr_queue_ptr 0
		.amdhsa_user_sgpr_kernarg_segment_ptr 1
		.amdhsa_user_sgpr_dispatch_id 0
		.amdhsa_user_sgpr_flat_scratch_init 0
		.amdhsa_user_sgpr_private_segment_size 0
		.amdhsa_uses_dynamic_stack 0
		.amdhsa_system_sgpr_private_segment_wavefront_offset 0
		.amdhsa_system_sgpr_workgroup_id_x 1
		.amdhsa_system_sgpr_workgroup_id_y 0
		.amdhsa_system_sgpr_workgroup_id_z 0
		.amdhsa_system_sgpr_workgroup_info 0
		.amdhsa_system_vgpr_workitem_id 0
		.amdhsa_next_free_vgpr 12
		.amdhsa_next_free_sgpr 8
		.amdhsa_reserve_vcc 1
		.amdhsa_reserve_flat_scratch 0
		.amdhsa_float_round_mode_32 0
		.amdhsa_float_round_mode_16_64 0
		.amdhsa_float_denorm_mode_32 3
		.amdhsa_float_denorm_mode_16_64 3
		.amdhsa_dx10_clamp 1
		.amdhsa_ieee_mode 1
		.amdhsa_fp16_overflow 0
		.amdhsa_exception_fp_ieee_invalid_op 0
		.amdhsa_exception_fp_denorm_src 0
		.amdhsa_exception_fp_ieee_div_zero 0
		.amdhsa_exception_fp_ieee_overflow 0
		.amdhsa_exception_fp_ieee_underflow 0
		.amdhsa_exception_fp_ieee_inexact 0
		.amdhsa_exception_int_div_zero 0
	.end_amdhsa_kernel
	.section	.text._Z19reduce_valid_kernelILj128ELN6hipcub20BlockReduceAlgorithmE0EiEvPT1_S3_j,"axG",@progbits,_Z19reduce_valid_kernelILj128ELN6hipcub20BlockReduceAlgorithmE0EiEvPT1_S3_j,comdat
.Lfunc_end80:
	.size	_Z19reduce_valid_kernelILj128ELN6hipcub20BlockReduceAlgorithmE0EiEvPT1_S3_j, .Lfunc_end80-_Z19reduce_valid_kernelILj128ELN6hipcub20BlockReduceAlgorithmE0EiEvPT1_S3_j
                                        ; -- End function
	.set _Z19reduce_valid_kernelILj128ELN6hipcub20BlockReduceAlgorithmE0EiEvPT1_S3_j.num_vgpr, 12
	.set _Z19reduce_valid_kernelILj128ELN6hipcub20BlockReduceAlgorithmE0EiEvPT1_S3_j.num_agpr, 0
	.set _Z19reduce_valid_kernelILj128ELN6hipcub20BlockReduceAlgorithmE0EiEvPT1_S3_j.numbered_sgpr, 8
	.set _Z19reduce_valid_kernelILj128ELN6hipcub20BlockReduceAlgorithmE0EiEvPT1_S3_j.num_named_barrier, 0
	.set _Z19reduce_valid_kernelILj128ELN6hipcub20BlockReduceAlgorithmE0EiEvPT1_S3_j.private_seg_size, 0
	.set _Z19reduce_valid_kernelILj128ELN6hipcub20BlockReduceAlgorithmE0EiEvPT1_S3_j.uses_vcc, 1
	.set _Z19reduce_valid_kernelILj128ELN6hipcub20BlockReduceAlgorithmE0EiEvPT1_S3_j.uses_flat_scratch, 0
	.set _Z19reduce_valid_kernelILj128ELN6hipcub20BlockReduceAlgorithmE0EiEvPT1_S3_j.has_dyn_sized_stack, 0
	.set _Z19reduce_valid_kernelILj128ELN6hipcub20BlockReduceAlgorithmE0EiEvPT1_S3_j.has_recursion, 0
	.set _Z19reduce_valid_kernelILj128ELN6hipcub20BlockReduceAlgorithmE0EiEvPT1_S3_j.has_indirect_call, 0
	.section	.AMDGPU.csdata,"",@progbits
; Kernel info:
; codeLenInByte = 520
; TotalNumSgprs: 12
; NumVgprs: 12
; ScratchSize: 0
; MemoryBound: 0
; FloatMode: 240
; IeeeMode: 1
; LDSByteSize: 8 bytes/workgroup (compile time only)
; SGPRBlocks: 1
; VGPRBlocks: 2
; NumSGPRsForWavesPerEU: 12
; NumVGPRsForWavesPerEU: 12
; Occupancy: 10
; WaveLimiterHint : 0
; COMPUTE_PGM_RSRC2:SCRATCH_EN: 0
; COMPUTE_PGM_RSRC2:USER_SGPR: 6
; COMPUTE_PGM_RSRC2:TRAP_HANDLER: 0
; COMPUTE_PGM_RSRC2:TGID_X_EN: 1
; COMPUTE_PGM_RSRC2:TGID_Y_EN: 0
; COMPUTE_PGM_RSRC2:TGID_Z_EN: 0
; COMPUTE_PGM_RSRC2:TIDIG_COMP_CNT: 0
	.section	.text._Z19reduce_valid_kernelILj64ELN6hipcub20BlockReduceAlgorithmE0EiEvPT1_S3_j,"axG",@progbits,_Z19reduce_valid_kernelILj64ELN6hipcub20BlockReduceAlgorithmE0EiEvPT1_S3_j,comdat
	.protected	_Z19reduce_valid_kernelILj64ELN6hipcub20BlockReduceAlgorithmE0EiEvPT1_S3_j ; -- Begin function _Z19reduce_valid_kernelILj64ELN6hipcub20BlockReduceAlgorithmE0EiEvPT1_S3_j
	.globl	_Z19reduce_valid_kernelILj64ELN6hipcub20BlockReduceAlgorithmE0EiEvPT1_S3_j
	.p2align	8
	.type	_Z19reduce_valid_kernelILj64ELN6hipcub20BlockReduceAlgorithmE0EiEvPT1_S3_j,@function
_Z19reduce_valid_kernelILj64ELN6hipcub20BlockReduceAlgorithmE0EiEvPT1_S3_j: ; @_Z19reduce_valid_kernelILj64ELN6hipcub20BlockReduceAlgorithmE0EiEvPT1_S3_j
; %bb.0:
	s_load_dwordx4 s[0:3], s[4:5], 0x0
	s_load_dword s8, s[4:5], 0x10
	v_lshl_or_b32 v1, s6, 6, v0
	v_mov_b32_e32 v2, 0
	v_lshlrev_b64 v[3:4], 2, v[1:2]
	s_waitcnt lgkmcnt(0)
	v_mov_b32_e32 v1, s1
	v_add_co_u32_e32 v3, vcc, s0, v3
	v_addc_co_u32_e32 v4, vcc, v1, v4, vcc
	global_load_dword v3, v[3:4], off
	v_mbcnt_lo_u32_b32 v1, -1, 0
	v_mbcnt_hi_u32_b32 v1, -1, v1
	v_and_b32_e32 v4, 63, v1
	v_cmp_ne_u32_e32 vcc, 63, v4
	v_addc_co_u32_e32 v9, vcc, 0, v1, vcc
	v_lshlrev_b32_e32 v9, 2, v9
	v_add_u32_e32 v5, 1, v1
	v_cmp_gt_u32_e32 vcc, 62, v4
	v_cndmask_b32_e64 v10, 0, 2, vcc
	v_cmp_gt_u32_e32 vcc, s8, v5
	v_add_lshl_u32 v10, v10, v1, 2
	v_add_u32_e32 v6, 2, v1
	v_add_u32_e32 v7, 4, v1
	;; [unrolled: 1-line block ×3, first 2 shown]
	s_mov_b32 s7, 0
	s_waitcnt vmcnt(0)
	ds_bpermute_b32 v9, v9, v3
	s_waitcnt lgkmcnt(0)
	v_cndmask_b32_e32 v5, 0, v9, vcc
	v_add_u32_e32 v3, v5, v3
	ds_bpermute_b32 v5, v10, v3
	v_cmp_gt_u32_e32 vcc, 60, v4
	v_cndmask_b32_e64 v9, 0, 4, vcc
	v_cmp_gt_u32_e32 vcc, s8, v6
	v_add_lshl_u32 v9, v9, v1, 2
	s_waitcnt lgkmcnt(0)
	v_cndmask_b32_e32 v5, 0, v5, vcc
	v_add_u32_e32 v3, v3, v5
	ds_bpermute_b32 v5, v9, v3
	v_cmp_gt_u32_e32 vcc, 56, v4
	v_cndmask_b32_e64 v6, 0, 8, vcc
	v_cmp_gt_u32_e32 vcc, s8, v7
	v_add_lshl_u32 v6, v6, v1, 2
	;; [unrolled: 8-line block ×3, first 2 shown]
	s_waitcnt lgkmcnt(0)
	v_cndmask_b32_e32 v5, 0, v5, vcc
	v_add_u32_e32 v3, v3, v5
	ds_bpermute_b32 v4, v4, v3
	v_add_u32_e32 v6, 16, v1
	v_cmp_gt_u32_e32 vcc, s8, v6
	v_mov_b32_e32 v5, 0x80
	s_waitcnt lgkmcnt(0)
	v_cndmask_b32_e32 v4, 0, v4, vcc
	v_add_u32_e32 v3, v3, v4
	v_lshl_or_b32 v4, v1, 2, v5
	ds_bpermute_b32 v4, v4, v3
	v_cmp_eq_u32_e32 vcc, 0, v0
	s_and_saveexec_b64 s[0:1], vcc
	s_cbranch_execz .LBB81_2
; %bb.1:
	v_add_u32_e32 v0, 32, v1
	s_lshl_b64 s[0:1], s[6:7], 2
	v_cmp_gt_u32_e32 vcc, s8, v0
	s_add_u32 s0, s2, s0
	s_waitcnt lgkmcnt(0)
	v_cndmask_b32_e32 v0, 0, v4, vcc
	s_addc_u32 s1, s3, s1
	v_add_u32_e32 v0, v3, v0
	global_store_dword v2, v0, s[0:1]
.LBB81_2:
	s_endpgm
	.section	.rodata,"a",@progbits
	.p2align	6, 0x0
	.amdhsa_kernel _Z19reduce_valid_kernelILj64ELN6hipcub20BlockReduceAlgorithmE0EiEvPT1_S3_j
		.amdhsa_group_segment_fixed_size 0
		.amdhsa_private_segment_fixed_size 0
		.amdhsa_kernarg_size 20
		.amdhsa_user_sgpr_count 6
		.amdhsa_user_sgpr_private_segment_buffer 1
		.amdhsa_user_sgpr_dispatch_ptr 0
		.amdhsa_user_sgpr_queue_ptr 0
		.amdhsa_user_sgpr_kernarg_segment_ptr 1
		.amdhsa_user_sgpr_dispatch_id 0
		.amdhsa_user_sgpr_flat_scratch_init 0
		.amdhsa_user_sgpr_private_segment_size 0
		.amdhsa_uses_dynamic_stack 0
		.amdhsa_system_sgpr_private_segment_wavefront_offset 0
		.amdhsa_system_sgpr_workgroup_id_x 1
		.amdhsa_system_sgpr_workgroup_id_y 0
		.amdhsa_system_sgpr_workgroup_id_z 0
		.amdhsa_system_sgpr_workgroup_info 0
		.amdhsa_system_vgpr_workitem_id 0
		.amdhsa_next_free_vgpr 11
		.amdhsa_next_free_sgpr 9
		.amdhsa_reserve_vcc 1
		.amdhsa_reserve_flat_scratch 0
		.amdhsa_float_round_mode_32 0
		.amdhsa_float_round_mode_16_64 0
		.amdhsa_float_denorm_mode_32 3
		.amdhsa_float_denorm_mode_16_64 3
		.amdhsa_dx10_clamp 1
		.amdhsa_ieee_mode 1
		.amdhsa_fp16_overflow 0
		.amdhsa_exception_fp_ieee_invalid_op 0
		.amdhsa_exception_fp_denorm_src 0
		.amdhsa_exception_fp_ieee_div_zero 0
		.amdhsa_exception_fp_ieee_overflow 0
		.amdhsa_exception_fp_ieee_underflow 0
		.amdhsa_exception_fp_ieee_inexact 0
		.amdhsa_exception_int_div_zero 0
	.end_amdhsa_kernel
	.section	.text._Z19reduce_valid_kernelILj64ELN6hipcub20BlockReduceAlgorithmE0EiEvPT1_S3_j,"axG",@progbits,_Z19reduce_valid_kernelILj64ELN6hipcub20BlockReduceAlgorithmE0EiEvPT1_S3_j,comdat
.Lfunc_end81:
	.size	_Z19reduce_valid_kernelILj64ELN6hipcub20BlockReduceAlgorithmE0EiEvPT1_S3_j, .Lfunc_end81-_Z19reduce_valid_kernelILj64ELN6hipcub20BlockReduceAlgorithmE0EiEvPT1_S3_j
                                        ; -- End function
	.set _Z19reduce_valid_kernelILj64ELN6hipcub20BlockReduceAlgorithmE0EiEvPT1_S3_j.num_vgpr, 11
	.set _Z19reduce_valid_kernelILj64ELN6hipcub20BlockReduceAlgorithmE0EiEvPT1_S3_j.num_agpr, 0
	.set _Z19reduce_valid_kernelILj64ELN6hipcub20BlockReduceAlgorithmE0EiEvPT1_S3_j.numbered_sgpr, 9
	.set _Z19reduce_valid_kernelILj64ELN6hipcub20BlockReduceAlgorithmE0EiEvPT1_S3_j.num_named_barrier, 0
	.set _Z19reduce_valid_kernelILj64ELN6hipcub20BlockReduceAlgorithmE0EiEvPT1_S3_j.private_seg_size, 0
	.set _Z19reduce_valid_kernelILj64ELN6hipcub20BlockReduceAlgorithmE0EiEvPT1_S3_j.uses_vcc, 1
	.set _Z19reduce_valid_kernelILj64ELN6hipcub20BlockReduceAlgorithmE0EiEvPT1_S3_j.uses_flat_scratch, 0
	.set _Z19reduce_valid_kernelILj64ELN6hipcub20BlockReduceAlgorithmE0EiEvPT1_S3_j.has_dyn_sized_stack, 0
	.set _Z19reduce_valid_kernelILj64ELN6hipcub20BlockReduceAlgorithmE0EiEvPT1_S3_j.has_recursion, 0
	.set _Z19reduce_valid_kernelILj64ELN6hipcub20BlockReduceAlgorithmE0EiEvPT1_S3_j.has_indirect_call, 0
	.section	.AMDGPU.csdata,"",@progbits
; Kernel info:
; codeLenInByte = 400
; TotalNumSgprs: 13
; NumVgprs: 11
; ScratchSize: 0
; MemoryBound: 0
; FloatMode: 240
; IeeeMode: 1
; LDSByteSize: 0 bytes/workgroup (compile time only)
; SGPRBlocks: 1
; VGPRBlocks: 2
; NumSGPRsForWavesPerEU: 13
; NumVGPRsForWavesPerEU: 11
; Occupancy: 10
; WaveLimiterHint : 0
; COMPUTE_PGM_RSRC2:SCRATCH_EN: 0
; COMPUTE_PGM_RSRC2:USER_SGPR: 6
; COMPUTE_PGM_RSRC2:TRAP_HANDLER: 0
; COMPUTE_PGM_RSRC2:TGID_X_EN: 1
; COMPUTE_PGM_RSRC2:TGID_Y_EN: 0
; COMPUTE_PGM_RSRC2:TGID_Z_EN: 0
; COMPUTE_PGM_RSRC2:TIDIG_COMP_CNT: 0
	.section	.text._Z19reduce_array_kernelILj32ELj4ELN6hipcub20BlockReduceAlgorithmE1E12hip_bfloat16EvPT2_S4_,"axG",@progbits,_Z19reduce_array_kernelILj32ELj4ELN6hipcub20BlockReduceAlgorithmE1E12hip_bfloat16EvPT2_S4_,comdat
	.protected	_Z19reduce_array_kernelILj32ELj4ELN6hipcub20BlockReduceAlgorithmE1E12hip_bfloat16EvPT2_S4_ ; -- Begin function _Z19reduce_array_kernelILj32ELj4ELN6hipcub20BlockReduceAlgorithmE1E12hip_bfloat16EvPT2_S4_
	.globl	_Z19reduce_array_kernelILj32ELj4ELN6hipcub20BlockReduceAlgorithmE1E12hip_bfloat16EvPT2_S4_
	.p2align	8
	.type	_Z19reduce_array_kernelILj32ELj4ELN6hipcub20BlockReduceAlgorithmE1E12hip_bfloat16EvPT2_S4_,@function
_Z19reduce_array_kernelILj32ELj4ELN6hipcub20BlockReduceAlgorithmE1E12hip_bfloat16EvPT2_S4_: ; @_Z19reduce_array_kernelILj32ELj4ELN6hipcub20BlockReduceAlgorithmE1E12hip_bfloat16EvPT2_S4_
; %bb.0:
	s_load_dwordx4 s[0:3], s[4:5], 0x0
	v_lshlrev_b32_e32 v1, 2, v0
	v_lshl_or_b32 v1, s6, 7, v1
	v_mov_b32_e32 v2, 0
	v_lshlrev_b64 v[1:2], 1, v[1:2]
	s_waitcnt lgkmcnt(0)
	v_mov_b32_e32 v3, s1
	v_add_co_u32_e32 v1, vcc, s0, v1
	v_addc_co_u32_e32 v2, vcc, v3, v2, vcc
	global_load_dwordx2 v[1:2], v[1:2], off
	s_mov_b32 s0, 0x7f800000
	s_waitcnt vmcnt(0)
	v_and_b32_e32 v3, 0xffff0000, v1
	v_lshlrev_b32_e32 v1, 16, v1
	v_add_f32_e32 v1, v1, v3
	v_and_b32_e32 v3, 0x7f800000, v1
	v_cmp_ne_u32_e32 vcc, s0, v3
                                        ; implicit-def: $vgpr3
	s_and_saveexec_b64 s[0:1], vcc
	s_xor_b64 s[0:1], exec, s[0:1]
; %bb.1:
	v_bfe_u32 v3, v1, 16, 1
	s_movk_i32 s4, 0x7fff
	v_add3_u32 v3, v1, v3, s4
                                        ; implicit-def: $vgpr1
; %bb.2:
	s_andn2_saveexec_b64 s[0:1], s[0:1]
; %bb.3:
	v_mov_b32_e32 v3, 0
	v_or_b32_e32 v4, 0x10000, v1
	v_cmp_eq_u32_sdwa vcc, v1, v3 src0_sel:WORD_0 src1_sel:DWORD
	v_cndmask_b32_e32 v3, v4, v1, vcc
; %bb.4:
	s_or_b64 exec, exec, s[0:1]
	v_and_b32_e32 v1, 0xffff0000, v3
	v_lshlrev_b32_e32 v3, 16, v2
	v_add_f32_e32 v1, v1, v3
	s_mov_b32 s0, 0x7f800000
	v_and_b32_e32 v3, 0x7f800000, v1
	v_cmp_ne_u32_e32 vcc, s0, v3
                                        ; implicit-def: $vgpr3
	s_and_saveexec_b64 s[0:1], vcc
	s_xor_b64 s[0:1], exec, s[0:1]
; %bb.5:
	v_bfe_u32 v3, v1, 16, 1
	s_movk_i32 s4, 0x7fff
	v_add3_u32 v3, v1, v3, s4
                                        ; implicit-def: $vgpr1
; %bb.6:
	s_andn2_saveexec_b64 s[0:1], s[0:1]
; %bb.7:
	v_mov_b32_e32 v3, 0
	v_or_b32_e32 v4, 0x10000, v1
	v_cmp_eq_u32_sdwa vcc, v1, v3 src0_sel:WORD_0 src1_sel:DWORD
	v_cndmask_b32_e32 v3, v4, v1, vcc
; %bb.8:
	s_or_b64 exec, exec, s[0:1]
	v_and_b32_e32 v1, 0xffff0000, v3
	v_and_b32_e32 v2, 0xffff0000, v2
	v_add_f32_e32 v1, v1, v2
	s_mov_b32 s0, 0x7f800000
	v_and_b32_e32 v2, 0x7f800000, v1
	v_cmp_ne_u32_e32 vcc, s0, v2
                                        ; implicit-def: $vgpr2
	s_and_saveexec_b64 s[0:1], vcc
	s_xor_b64 s[0:1], exec, s[0:1]
; %bb.9:
	v_bfe_u32 v2, v1, 16, 1
	s_movk_i32 s4, 0x7fff
	v_add3_u32 v2, v1, v2, s4
                                        ; implicit-def: $vgpr1
; %bb.10:
	s_andn2_saveexec_b64 s[0:1], s[0:1]
; %bb.11:
	v_mov_b32_e32 v2, 0
	v_or_b32_e32 v3, 0x10000, v1
	v_cmp_eq_u32_sdwa vcc, v1, v2 src0_sel:WORD_0 src1_sel:DWORD
	v_cndmask_b32_e32 v2, v3, v1, vcc
; %bb.12:
	s_or_b64 exec, exec, s[0:1]
	v_lshlrev_b32_e32 v3, 1, v0
	v_cmp_gt_u32_e32 vcc, 32, v0
	ds_write_b16_d16_hi v3, v2
	s_waitcnt lgkmcnt(0)
	; wave barrier
                                        ; implicit-def: $vgpr1
	s_and_saveexec_b64 s[0:1], vcc
	s_xor_b64 s[0:1], exec, s[0:1]
	s_cbranch_execz .LBB82_34
; %bb.13:
	v_mbcnt_lo_u32_b32 v1, -1, 0
	ds_read_u16 v3, v3
	v_mbcnt_hi_u32_b32 v1, -1, v1
	v_and_b32_e32 v2, 31, v1
	v_cmp_ne_u32_e32 vcc, 31, v2
	v_addc_co_u32_e32 v4, vcc, 0, v1, vcc
	v_lshlrev_b32_e32 v4, 2, v4
	s_waitcnt lgkmcnt(0)
	ds_bpermute_b32 v4, v4, v3
	v_lshlrev_b32_e32 v3, 16, v3
	s_mov_b32 s4, 0x7f800000
	s_waitcnt lgkmcnt(0)
	v_lshlrev_b32_e32 v4, 16, v4
	v_add_f32_e32 v4, v3, v4
	v_and_b32_e32 v3, 0x7f800000, v4
	v_cmp_ne_u32_e32 vcc, s4, v3
                                        ; implicit-def: $vgpr3
	s_and_saveexec_b64 s[4:5], vcc
	s_xor_b64 s[4:5], exec, s[4:5]
; %bb.14:
	v_bfe_u32 v3, v4, 16, 1
	s_movk_i32 s7, 0x7fff
	v_add3_u32 v3, v4, v3, s7
                                        ; implicit-def: $vgpr4
; %bb.15:
	s_andn2_saveexec_b64 s[4:5], s[4:5]
; %bb.16:
	v_mov_b32_e32 v3, 0
	v_or_b32_e32 v5, 0x10000, v4
	v_cmp_eq_u32_sdwa vcc, v4, v3 src0_sel:WORD_0 src1_sel:DWORD
	v_cndmask_b32_e32 v3, v5, v4, vcc
; %bb.17:
	s_or_b64 exec, exec, s[4:5]
	v_cmp_gt_u32_e32 vcc, 30, v2
	v_cndmask_b32_e64 v5, 0, 2, vcc
	v_lshrrev_b32_e32 v4, 16, v3
	v_add_lshl_u32 v5, v5, v1, 2
	ds_bpermute_b32 v4, v5, v4
	v_and_b32_e32 v3, 0xffff0000, v3
	s_mov_b32 s4, 0x7f800000
	s_waitcnt lgkmcnt(0)
	v_lshlrev_b32_e32 v4, 16, v4
	v_add_f32_e32 v3, v3, v4
	v_and_b32_e32 v4, 0x7f800000, v3
	v_cmp_ne_u32_e32 vcc, s4, v4
                                        ; implicit-def: $vgpr4
	s_and_saveexec_b64 s[4:5], vcc
	s_xor_b64 s[4:5], exec, s[4:5]
; %bb.18:
	v_bfe_u32 v4, v3, 16, 1
	s_movk_i32 s7, 0x7fff
	v_add3_u32 v4, v3, v4, s7
                                        ; implicit-def: $vgpr3
; %bb.19:
	s_andn2_saveexec_b64 s[4:5], s[4:5]
; %bb.20:
	v_mov_b32_e32 v4, 0
	v_or_b32_e32 v5, 0x10000, v3
	v_cmp_eq_u32_sdwa vcc, v3, v4 src0_sel:WORD_0 src1_sel:DWORD
	v_cndmask_b32_e32 v4, v5, v3, vcc
; %bb.21:
	s_or_b64 exec, exec, s[4:5]
	v_cmp_gt_u32_e32 vcc, 28, v2
	v_cndmask_b32_e64 v5, 0, 4, vcc
	v_lshrrev_b32_e32 v3, 16, v4
	v_add_lshl_u32 v5, v5, v1, 2
	ds_bpermute_b32 v3, v5, v3
	v_and_b32_e32 v4, 0xffff0000, v4
	s_mov_b32 s4, 0x7f800000
	s_waitcnt lgkmcnt(0)
	v_lshlrev_b32_e32 v3, 16, v3
	v_add_f32_e32 v3, v4, v3
	v_and_b32_e32 v4, 0x7f800000, v3
	v_cmp_ne_u32_e32 vcc, s4, v4
                                        ; implicit-def: $vgpr4
	s_and_saveexec_b64 s[4:5], vcc
	s_xor_b64 s[4:5], exec, s[4:5]
; %bb.22:
	v_bfe_u32 v4, v3, 16, 1
	s_movk_i32 s7, 0x7fff
	v_add3_u32 v4, v3, v4, s7
                                        ; implicit-def: $vgpr3
; %bb.23:
	s_andn2_saveexec_b64 s[4:5], s[4:5]
; %bb.24:
	v_mov_b32_e32 v4, 0
	v_or_b32_e32 v5, 0x10000, v3
	v_cmp_eq_u32_sdwa vcc, v3, v4 src0_sel:WORD_0 src1_sel:DWORD
	v_cndmask_b32_e32 v4, v5, v3, vcc
; %bb.25:
	s_or_b64 exec, exec, s[4:5]
	v_cmp_gt_u32_e32 vcc, 24, v2
	v_cndmask_b32_e64 v2, 0, 8, vcc
	v_lshrrev_b32_e32 v3, 16, v4
	v_add_lshl_u32 v2, v2, v1, 2
	ds_bpermute_b32 v2, v2, v3
	v_and_b32_e32 v3, 0xffff0000, v4
	s_mov_b32 s4, 0x7f800000
	s_waitcnt lgkmcnt(0)
	v_lshlrev_b32_e32 v2, 16, v2
	v_add_f32_e32 v2, v3, v2
	v_and_b32_e32 v3, 0x7f800000, v2
	v_cmp_ne_u32_e32 vcc, s4, v3
                                        ; implicit-def: $vgpr3
	s_and_saveexec_b64 s[4:5], vcc
	s_xor_b64 s[4:5], exec, s[4:5]
; %bb.26:
	v_bfe_u32 v3, v2, 16, 1
	s_movk_i32 s7, 0x7fff
	v_add3_u32 v3, v2, v3, s7
                                        ; implicit-def: $vgpr2
; %bb.27:
	s_andn2_saveexec_b64 s[4:5], s[4:5]
; %bb.28:
	v_mov_b32_e32 v3, 0
	v_or_b32_e32 v4, 0x10000, v2
	v_cmp_eq_u32_sdwa vcc, v2, v3 src0_sel:WORD_0 src1_sel:DWORD
	v_cndmask_b32_e32 v3, v4, v2, vcc
; %bb.29:
	s_or_b64 exec, exec, s[4:5]
	v_lshrrev_b32_e32 v2, 16, v3
	v_lshl_or_b32 v1, v1, 2, 64
	ds_bpermute_b32 v1, v1, v2
	v_and_b32_e32 v2, 0xffff0000, v3
	s_mov_b32 s4, 0x7f800000
	s_waitcnt lgkmcnt(0)
	v_lshlrev_b32_e32 v1, 16, v1
	v_add_f32_e32 v1, v2, v1
	v_and_b32_e32 v2, 0x7f800000, v1
	v_cmp_ne_u32_e32 vcc, s4, v2
                                        ; implicit-def: $vgpr2
	s_and_saveexec_b64 s[4:5], vcc
	s_xor_b64 s[4:5], exec, s[4:5]
; %bb.30:
	v_bfe_u32 v2, v1, 16, 1
	s_movk_i32 s7, 0x7fff
	v_add3_u32 v2, v1, v2, s7
                                        ; implicit-def: $vgpr1
; %bb.31:
	s_andn2_saveexec_b64 s[4:5], s[4:5]
; %bb.32:
	v_mov_b32_e32 v2, 0
	v_or_b32_e32 v3, 0x10000, v1
	v_cmp_eq_u32_sdwa vcc, v1, v2 src0_sel:WORD_0 src1_sel:DWORD
	v_cndmask_b32_e32 v2, v3, v1, vcc
; %bb.33:
	s_or_b64 exec, exec, s[4:5]
	v_lshrrev_b32_e32 v1, 16, v2
.LBB82_34:
	s_or_b64 exec, exec, s[0:1]
	s_mov_b32 s7, 0
	v_cmp_eq_u32_e32 vcc, 0, v0
	s_and_saveexec_b64 s[0:1], vcc
	s_cbranch_execz .LBB82_36
; %bb.35:
	s_lshl_b64 s[0:1], s[6:7], 1
	s_add_u32 s0, s2, s0
	s_addc_u32 s1, s3, s1
	v_mov_b32_e32 v0, 0
	global_store_short v0, v1, s[0:1]
.LBB82_36:
	s_endpgm
	.section	.rodata,"a",@progbits
	.p2align	6, 0x0
	.amdhsa_kernel _Z19reduce_array_kernelILj32ELj4ELN6hipcub20BlockReduceAlgorithmE1E12hip_bfloat16EvPT2_S4_
		.amdhsa_group_segment_fixed_size 64
		.amdhsa_private_segment_fixed_size 0
		.amdhsa_kernarg_size 16
		.amdhsa_user_sgpr_count 6
		.amdhsa_user_sgpr_private_segment_buffer 1
		.amdhsa_user_sgpr_dispatch_ptr 0
		.amdhsa_user_sgpr_queue_ptr 0
		.amdhsa_user_sgpr_kernarg_segment_ptr 1
		.amdhsa_user_sgpr_dispatch_id 0
		.amdhsa_user_sgpr_flat_scratch_init 0
		.amdhsa_user_sgpr_private_segment_size 0
		.amdhsa_uses_dynamic_stack 0
		.amdhsa_system_sgpr_private_segment_wavefront_offset 0
		.amdhsa_system_sgpr_workgroup_id_x 1
		.amdhsa_system_sgpr_workgroup_id_y 0
		.amdhsa_system_sgpr_workgroup_id_z 0
		.amdhsa_system_sgpr_workgroup_info 0
		.amdhsa_system_vgpr_workitem_id 0
		.amdhsa_next_free_vgpr 6
		.amdhsa_next_free_sgpr 8
		.amdhsa_reserve_vcc 1
		.amdhsa_reserve_flat_scratch 0
		.amdhsa_float_round_mode_32 0
		.amdhsa_float_round_mode_16_64 0
		.amdhsa_float_denorm_mode_32 3
		.amdhsa_float_denorm_mode_16_64 3
		.amdhsa_dx10_clamp 1
		.amdhsa_ieee_mode 1
		.amdhsa_fp16_overflow 0
		.amdhsa_exception_fp_ieee_invalid_op 0
		.amdhsa_exception_fp_denorm_src 0
		.amdhsa_exception_fp_ieee_div_zero 0
		.amdhsa_exception_fp_ieee_overflow 0
		.amdhsa_exception_fp_ieee_underflow 0
		.amdhsa_exception_fp_ieee_inexact 0
		.amdhsa_exception_int_div_zero 0
	.end_amdhsa_kernel
	.section	.text._Z19reduce_array_kernelILj32ELj4ELN6hipcub20BlockReduceAlgorithmE1E12hip_bfloat16EvPT2_S4_,"axG",@progbits,_Z19reduce_array_kernelILj32ELj4ELN6hipcub20BlockReduceAlgorithmE1E12hip_bfloat16EvPT2_S4_,comdat
.Lfunc_end82:
	.size	_Z19reduce_array_kernelILj32ELj4ELN6hipcub20BlockReduceAlgorithmE1E12hip_bfloat16EvPT2_S4_, .Lfunc_end82-_Z19reduce_array_kernelILj32ELj4ELN6hipcub20BlockReduceAlgorithmE1E12hip_bfloat16EvPT2_S4_
                                        ; -- End function
	.set _Z19reduce_array_kernelILj32ELj4ELN6hipcub20BlockReduceAlgorithmE1E12hip_bfloat16EvPT2_S4_.num_vgpr, 6
	.set _Z19reduce_array_kernelILj32ELj4ELN6hipcub20BlockReduceAlgorithmE1E12hip_bfloat16EvPT2_S4_.num_agpr, 0
	.set _Z19reduce_array_kernelILj32ELj4ELN6hipcub20BlockReduceAlgorithmE1E12hip_bfloat16EvPT2_S4_.numbered_sgpr, 8
	.set _Z19reduce_array_kernelILj32ELj4ELN6hipcub20BlockReduceAlgorithmE1E12hip_bfloat16EvPT2_S4_.num_named_barrier, 0
	.set _Z19reduce_array_kernelILj32ELj4ELN6hipcub20BlockReduceAlgorithmE1E12hip_bfloat16EvPT2_S4_.private_seg_size, 0
	.set _Z19reduce_array_kernelILj32ELj4ELN6hipcub20BlockReduceAlgorithmE1E12hip_bfloat16EvPT2_S4_.uses_vcc, 1
	.set _Z19reduce_array_kernelILj32ELj4ELN6hipcub20BlockReduceAlgorithmE1E12hip_bfloat16EvPT2_S4_.uses_flat_scratch, 0
	.set _Z19reduce_array_kernelILj32ELj4ELN6hipcub20BlockReduceAlgorithmE1E12hip_bfloat16EvPT2_S4_.has_dyn_sized_stack, 0
	.set _Z19reduce_array_kernelILj32ELj4ELN6hipcub20BlockReduceAlgorithmE1E12hip_bfloat16EvPT2_S4_.has_recursion, 0
	.set _Z19reduce_array_kernelILj32ELj4ELN6hipcub20BlockReduceAlgorithmE1E12hip_bfloat16EvPT2_S4_.has_indirect_call, 0
	.section	.AMDGPU.csdata,"",@progbits
; Kernel info:
; codeLenInByte = 1100
; TotalNumSgprs: 12
; NumVgprs: 6
; ScratchSize: 0
; MemoryBound: 0
; FloatMode: 240
; IeeeMode: 1
; LDSByteSize: 64 bytes/workgroup (compile time only)
; SGPRBlocks: 1
; VGPRBlocks: 1
; NumSGPRsForWavesPerEU: 12
; NumVGPRsForWavesPerEU: 6
; Occupancy: 10
; WaveLimiterHint : 0
; COMPUTE_PGM_RSRC2:SCRATCH_EN: 0
; COMPUTE_PGM_RSRC2:USER_SGPR: 6
; COMPUTE_PGM_RSRC2:TRAP_HANDLER: 0
; COMPUTE_PGM_RSRC2:TGID_X_EN: 1
; COMPUTE_PGM_RSRC2:TGID_Y_EN: 0
; COMPUTE_PGM_RSRC2:TGID_Z_EN: 0
; COMPUTE_PGM_RSRC2:TIDIG_COMP_CNT: 0
	.section	.text._Z19reduce_array_kernelILj32ELj4ELN6hipcub20BlockReduceAlgorithmE1E6__halfEvPT2_S4_,"axG",@progbits,_Z19reduce_array_kernelILj32ELj4ELN6hipcub20BlockReduceAlgorithmE1E6__halfEvPT2_S4_,comdat
	.protected	_Z19reduce_array_kernelILj32ELj4ELN6hipcub20BlockReduceAlgorithmE1E6__halfEvPT2_S4_ ; -- Begin function _Z19reduce_array_kernelILj32ELj4ELN6hipcub20BlockReduceAlgorithmE1E6__halfEvPT2_S4_
	.globl	_Z19reduce_array_kernelILj32ELj4ELN6hipcub20BlockReduceAlgorithmE1E6__halfEvPT2_S4_
	.p2align	8
	.type	_Z19reduce_array_kernelILj32ELj4ELN6hipcub20BlockReduceAlgorithmE1E6__halfEvPT2_S4_,@function
_Z19reduce_array_kernelILj32ELj4ELN6hipcub20BlockReduceAlgorithmE1E6__halfEvPT2_S4_: ; @_Z19reduce_array_kernelILj32ELj4ELN6hipcub20BlockReduceAlgorithmE1E6__halfEvPT2_S4_
; %bb.0:
	s_load_dwordx4 s[0:3], s[4:5], 0x0
	v_lshlrev_b32_e32 v1, 2, v0
	v_lshl_or_b32 v1, s6, 7, v1
	v_mov_b32_e32 v2, 0
	v_lshlrev_b64 v[1:2], 1, v[1:2]
	s_waitcnt lgkmcnt(0)
	v_mov_b32_e32 v3, s1
	v_add_co_u32_e32 v1, vcc, s0, v1
	v_addc_co_u32_e32 v2, vcc, v3, v2, vcc
	global_load_dwordx2 v[3:4], v[1:2], off
	v_lshlrev_b32_e32 v2, 1, v0
	v_cmp_gt_u32_e32 vcc, 32, v0
	s_waitcnt vmcnt(0)
	v_add_f16_sdwa v1, v3, v3 dst_sel:DWORD dst_unused:UNUSED_PAD src0_sel:DWORD src1_sel:WORD_1
	v_add_f16_e32 v1, v1, v4
	v_add_f16_sdwa v1, v1, v4 dst_sel:DWORD dst_unused:UNUSED_PAD src0_sel:DWORD src1_sel:WORD_1
	ds_write_b16 v2, v1
	s_waitcnt lgkmcnt(0)
	; wave barrier
                                        ; implicit-def: $vgpr1
	s_and_saveexec_b64 s[0:1], vcc
	s_cbranch_execz .LBB83_2
; %bb.1:
	ds_read_u16 v1, v2
	v_mbcnt_lo_u32_b32 v2, -1, 0
	v_mbcnt_hi_u32_b32 v2, -1, v2
	v_and_b32_e32 v3, 31, v2
	v_cmp_ne_u32_e32 vcc, 31, v3
	v_addc_co_u32_e32 v4, vcc, 0, v2, vcc
	v_lshlrev_b32_e32 v4, 2, v4
	s_waitcnt lgkmcnt(0)
	v_and_b32_e32 v5, 0xffff, v1
	ds_bpermute_b32 v4, v4, v5
	v_cmp_gt_u32_e32 vcc, 30, v3
	s_waitcnt lgkmcnt(0)
	v_add_f16_e32 v1, v1, v4
	v_cndmask_b32_e64 v4, 0, 2, vcc
	v_add_lshl_u32 v4, v4, v2, 2
	ds_bpermute_b32 v4, v4, v1
	v_cmp_gt_u32_e32 vcc, 28, v3
	v_cndmask_b32_e64 v5, 0, 4, vcc
	v_cmp_gt_u32_e32 vcc, 24, v3
	v_cndmask_b32_e64 v3, 0, 8, vcc
	s_waitcnt lgkmcnt(0)
	v_add_f16_e32 v1, v1, v4
	v_add_lshl_u32 v4, v5, v2, 2
	ds_bpermute_b32 v4, v4, v1
	v_add_lshl_u32 v3, v3, v2, 2
	v_lshl_or_b32 v2, v2, 2, 64
	s_waitcnt lgkmcnt(0)
	v_add_f16_e32 v1, v1, v4
	ds_bpermute_b32 v3, v3, v1
	s_waitcnt lgkmcnt(0)
	v_add_f16_e32 v1, v1, v3
	ds_bpermute_b32 v2, v2, v1
	s_waitcnt lgkmcnt(0)
	v_add_f16_e32 v1, v1, v2
.LBB83_2:
	s_or_b64 exec, exec, s[0:1]
	s_mov_b32 s7, 0
	v_cmp_eq_u32_e32 vcc, 0, v0
	s_and_saveexec_b64 s[0:1], vcc
	s_cbranch_execz .LBB83_4
; %bb.3:
	s_lshl_b64 s[0:1], s[6:7], 1
	s_add_u32 s0, s2, s0
	s_addc_u32 s1, s3, s1
	v_mov_b32_e32 v0, 0
	global_store_short v0, v1, s[0:1]
.LBB83_4:
	s_endpgm
	.section	.rodata,"a",@progbits
	.p2align	6, 0x0
	.amdhsa_kernel _Z19reduce_array_kernelILj32ELj4ELN6hipcub20BlockReduceAlgorithmE1E6__halfEvPT2_S4_
		.amdhsa_group_segment_fixed_size 64
		.amdhsa_private_segment_fixed_size 0
		.amdhsa_kernarg_size 16
		.amdhsa_user_sgpr_count 6
		.amdhsa_user_sgpr_private_segment_buffer 1
		.amdhsa_user_sgpr_dispatch_ptr 0
		.amdhsa_user_sgpr_queue_ptr 0
		.amdhsa_user_sgpr_kernarg_segment_ptr 1
		.amdhsa_user_sgpr_dispatch_id 0
		.amdhsa_user_sgpr_flat_scratch_init 0
		.amdhsa_user_sgpr_private_segment_size 0
		.amdhsa_uses_dynamic_stack 0
		.amdhsa_system_sgpr_private_segment_wavefront_offset 0
		.amdhsa_system_sgpr_workgroup_id_x 1
		.amdhsa_system_sgpr_workgroup_id_y 0
		.amdhsa_system_sgpr_workgroup_id_z 0
		.amdhsa_system_sgpr_workgroup_info 0
		.amdhsa_system_vgpr_workitem_id 0
		.amdhsa_next_free_vgpr 6
		.amdhsa_next_free_sgpr 8
		.amdhsa_reserve_vcc 1
		.amdhsa_reserve_flat_scratch 0
		.amdhsa_float_round_mode_32 0
		.amdhsa_float_round_mode_16_64 0
		.amdhsa_float_denorm_mode_32 3
		.amdhsa_float_denorm_mode_16_64 3
		.amdhsa_dx10_clamp 1
		.amdhsa_ieee_mode 1
		.amdhsa_fp16_overflow 0
		.amdhsa_exception_fp_ieee_invalid_op 0
		.amdhsa_exception_fp_denorm_src 0
		.amdhsa_exception_fp_ieee_div_zero 0
		.amdhsa_exception_fp_ieee_overflow 0
		.amdhsa_exception_fp_ieee_underflow 0
		.amdhsa_exception_fp_ieee_inexact 0
		.amdhsa_exception_int_div_zero 0
	.end_amdhsa_kernel
	.section	.text._Z19reduce_array_kernelILj32ELj4ELN6hipcub20BlockReduceAlgorithmE1E6__halfEvPT2_S4_,"axG",@progbits,_Z19reduce_array_kernelILj32ELj4ELN6hipcub20BlockReduceAlgorithmE1E6__halfEvPT2_S4_,comdat
.Lfunc_end83:
	.size	_Z19reduce_array_kernelILj32ELj4ELN6hipcub20BlockReduceAlgorithmE1E6__halfEvPT2_S4_, .Lfunc_end83-_Z19reduce_array_kernelILj32ELj4ELN6hipcub20BlockReduceAlgorithmE1E6__halfEvPT2_S4_
                                        ; -- End function
	.set _Z19reduce_array_kernelILj32ELj4ELN6hipcub20BlockReduceAlgorithmE1E6__halfEvPT2_S4_.num_vgpr, 6
	.set _Z19reduce_array_kernelILj32ELj4ELN6hipcub20BlockReduceAlgorithmE1E6__halfEvPT2_S4_.num_agpr, 0
	.set _Z19reduce_array_kernelILj32ELj4ELN6hipcub20BlockReduceAlgorithmE1E6__halfEvPT2_S4_.numbered_sgpr, 8
	.set _Z19reduce_array_kernelILj32ELj4ELN6hipcub20BlockReduceAlgorithmE1E6__halfEvPT2_S4_.num_named_barrier, 0
	.set _Z19reduce_array_kernelILj32ELj4ELN6hipcub20BlockReduceAlgorithmE1E6__halfEvPT2_S4_.private_seg_size, 0
	.set _Z19reduce_array_kernelILj32ELj4ELN6hipcub20BlockReduceAlgorithmE1E6__halfEvPT2_S4_.uses_vcc, 1
	.set _Z19reduce_array_kernelILj32ELj4ELN6hipcub20BlockReduceAlgorithmE1E6__halfEvPT2_S4_.uses_flat_scratch, 0
	.set _Z19reduce_array_kernelILj32ELj4ELN6hipcub20BlockReduceAlgorithmE1E6__halfEvPT2_S4_.has_dyn_sized_stack, 0
	.set _Z19reduce_array_kernelILj32ELj4ELN6hipcub20BlockReduceAlgorithmE1E6__halfEvPT2_S4_.has_recursion, 0
	.set _Z19reduce_array_kernelILj32ELj4ELN6hipcub20BlockReduceAlgorithmE1E6__halfEvPT2_S4_.has_indirect_call, 0
	.section	.AMDGPU.csdata,"",@progbits
; Kernel info:
; codeLenInByte = 356
; TotalNumSgprs: 12
; NumVgprs: 6
; ScratchSize: 0
; MemoryBound: 0
; FloatMode: 240
; IeeeMode: 1
; LDSByteSize: 64 bytes/workgroup (compile time only)
; SGPRBlocks: 1
; VGPRBlocks: 1
; NumSGPRsForWavesPerEU: 12
; NumVGPRsForWavesPerEU: 6
; Occupancy: 10
; WaveLimiterHint : 0
; COMPUTE_PGM_RSRC2:SCRATCH_EN: 0
; COMPUTE_PGM_RSRC2:USER_SGPR: 6
; COMPUTE_PGM_RSRC2:TRAP_HANDLER: 0
; COMPUTE_PGM_RSRC2:TGID_X_EN: 1
; COMPUTE_PGM_RSRC2:TGID_Y_EN: 0
; COMPUTE_PGM_RSRC2:TGID_Z_EN: 0
; COMPUTE_PGM_RSRC2:TIDIG_COMP_CNT: 0
	.section	.text._Z19reduce_array_kernelILj255ELj15ELN6hipcub20BlockReduceAlgorithmE1EfEvPT2_S3_,"axG",@progbits,_Z19reduce_array_kernelILj255ELj15ELN6hipcub20BlockReduceAlgorithmE1EfEvPT2_S3_,comdat
	.protected	_Z19reduce_array_kernelILj255ELj15ELN6hipcub20BlockReduceAlgorithmE1EfEvPT2_S3_ ; -- Begin function _Z19reduce_array_kernelILj255ELj15ELN6hipcub20BlockReduceAlgorithmE1EfEvPT2_S3_
	.globl	_Z19reduce_array_kernelILj255ELj15ELN6hipcub20BlockReduceAlgorithmE1EfEvPT2_S3_
	.p2align	8
	.type	_Z19reduce_array_kernelILj255ELj15ELN6hipcub20BlockReduceAlgorithmE1EfEvPT2_S3_,@function
_Z19reduce_array_kernelILj255ELj15ELN6hipcub20BlockReduceAlgorithmE1EfEvPT2_S3_: ; @_Z19reduce_array_kernelILj255ELj15ELN6hipcub20BlockReduceAlgorithmE1EfEvPT2_S3_
; %bb.0:
	s_load_dwordx4 s[0:3], s[4:5], 0x0
	s_mul_i32 s4, s6, 0xff
	v_add_u32_e32 v1, s4, v0
	v_mul_lo_u32 v1, v1, 15
	v_mov_b32_e32 v2, 0
	s_waitcnt lgkmcnt(0)
	v_mov_b32_e32 v5, s1
	v_mov_b32_e32 v6, s1
	v_lshlrev_b64 v[3:4], 2, v[1:2]
	v_mov_b32_e32 v7, s1
	v_add_co_u32_e32 v3, vcc, s0, v3
	v_addc_co_u32_e32 v4, vcc, v5, v4, vcc
	global_load_dword v5, v[3:4], off
	v_add_u32_e32 v3, 1, v1
	v_mov_b32_e32 v4, v2
	v_lshlrev_b64 v[3:4], 2, v[3:4]
	v_mov_b32_e32 v8, s1
	v_add_co_u32_e32 v3, vcc, s0, v3
	v_addc_co_u32_e32 v4, vcc, v6, v4, vcc
	global_load_dword v6, v[3:4], off
	v_add_u32_e32 v3, 2, v1
	;; [unrolled: 7-line block ×12, first 2 shown]
	v_mov_b32_e32 v4, v2
	v_lshlrev_b64 v[3:4], 2, v[3:4]
	v_add_co_u32_e32 v3, vcc, s0, v3
	v_addc_co_u32_e32 v4, vcc, v17, v4, vcc
	global_load_dword v17, v[3:4], off
	v_add_u32_e32 v3, 13, v1
	v_mov_b32_e32 v4, v2
	v_lshlrev_b64 v[3:4], 2, v[3:4]
	v_add_u32_e32 v1, 14, v1
	v_add_co_u32_e32 v3, vcc, s0, v3
	v_lshlrev_b64 v[1:2], 2, v[1:2]
	v_addc_co_u32_e32 v4, vcc, v18, v4, vcc
	global_load_dword v3, v[3:4], off
	v_add_co_u32_e32 v1, vcc, s0, v1
	v_mov_b32_e32 v4, s1
	v_addc_co_u32_e32 v2, vcc, v4, v2, vcc
	global_load_dword v1, v[1:2], off
	s_waitcnt vmcnt(13)
	v_add_f32_e32 v2, v5, v6
	s_waitcnt vmcnt(12)
	v_add_f32_e32 v2, v7, v2
	;; [unrolled: 2-line block ×5, first 2 shown]
	v_cmp_ne_u32_e32 vcc, 63, v0
	s_waitcnt vmcnt(8)
	v_add_f32_e32 v2, v11, v2
	s_waitcnt vmcnt(7)
	v_add_f32_e32 v2, v12, v2
	;; [unrolled: 2-line block ×9, first 2 shown]
	v_lshlrev_b32_e32 v1, 2, v0
	v_mad_u32_u24 v4, v0, 12, v1
	ds_write_b32 v1, v2
	s_waitcnt lgkmcnt(0)
	s_barrier
	ds_read2_b32 v[2:3], v4 offset1:1
	s_waitcnt lgkmcnt(0)
	v_add_f32_e32 v2, v2, v3
	ds_read_b32 v3, v4 offset:8
	s_waitcnt lgkmcnt(0)
	v_add_f32_e32 v2, v2, v3
	s_and_saveexec_b64 s[0:1], vcc
	s_cbranch_execz .LBB84_2
; %bb.1:
	v_mul_u32_u24_e32 v3, 12, v0
	v_add_u32_e32 v1, v1, v3
	ds_read_b32 v1, v1 offset:12
	s_waitcnt lgkmcnt(0)
	v_add_f32_e32 v2, v2, v1
.LBB84_2:
	s_or_b64 exec, exec, s[0:1]
	v_mbcnt_lo_u32_b32 v1, -1, 0
	v_mbcnt_hi_u32_b32 v1, -1, v1
	v_and_b32_e32 v3, 63, v1
	v_cmp_ne_u32_e32 vcc, 63, v3
	v_addc_co_u32_e32 v4, vcc, 0, v1, vcc
	v_lshlrev_b32_e32 v4, 2, v4
	ds_bpermute_b32 v4, v4, v2
	v_add_u32_e32 v5, 1, v1
	v_cmp_gt_u32_e32 vcc, 64, v5
	v_add_u32_e32 v5, 2, v1
	s_mov_b32 s7, 0
	s_waitcnt lgkmcnt(0)
	v_add_f32_e32 v4, v2, v4
	v_cndmask_b32_e32 v2, v2, v4, vcc
	v_cmp_gt_u32_e32 vcc, 62, v3
	v_cndmask_b32_e64 v4, 0, 2, vcc
	v_add_lshl_u32 v4, v4, v1, 2
	ds_bpermute_b32 v4, v4, v2
	v_cmp_gt_u32_e32 vcc, 64, v5
	v_add_u32_e32 v5, 4, v1
	s_waitcnt lgkmcnt(0)
	v_add_f32_e32 v4, v2, v4
	v_cndmask_b32_e32 v2, v2, v4, vcc
	v_cmp_gt_u32_e32 vcc, 60, v3
	v_cndmask_b32_e64 v4, 0, 4, vcc
	v_add_lshl_u32 v4, v4, v1, 2
	ds_bpermute_b32 v4, v4, v2
	v_cmp_gt_u32_e32 vcc, 64, v5
	v_add_u32_e32 v5, 8, v1
	s_waitcnt lgkmcnt(0)
	v_add_f32_e32 v4, v2, v4
	v_cndmask_b32_e32 v2, v2, v4, vcc
	v_cmp_gt_u32_e32 vcc, 56, v3
	v_cndmask_b32_e64 v4, 0, 8, vcc
	v_add_lshl_u32 v4, v4, v1, 2
	ds_bpermute_b32 v4, v4, v2
	v_cmp_gt_u32_e32 vcc, 64, v5
	s_waitcnt lgkmcnt(0)
	v_add_f32_e32 v4, v2, v4
	v_cndmask_b32_e32 v2, v2, v4, vcc
	v_cmp_gt_u32_e32 vcc, 48, v3
	v_cndmask_b32_e64 v3, 0, 16, vcc
	v_add_lshl_u32 v3, v3, v1, 2
	ds_bpermute_b32 v3, v3, v2
	v_add_u32_e32 v4, 16, v1
	v_cmp_gt_u32_e32 vcc, 64, v4
	s_waitcnt lgkmcnt(0)
	v_add_f32_e32 v3, v2, v3
	v_cndmask_b32_e32 v2, v2, v3, vcc
	v_mov_b32_e32 v3, 0x80
	v_lshl_or_b32 v3, v1, 2, v3
	ds_bpermute_b32 v3, v3, v2
	v_cmp_eq_u32_e32 vcc, 0, v0
	s_and_saveexec_b64 s[0:1], vcc
	s_cbranch_execz .LBB84_4
; %bb.3:
	s_lshl_b64 s[0:1], s[6:7], 2
	v_add_u32_e32 v1, 32, v1
	s_add_u32 s0, s2, s0
	s_waitcnt lgkmcnt(0)
	v_add_f32_e32 v3, v2, v3
	v_cmp_gt_u32_e32 vcc, 64, v1
	s_addc_u32 s1, s3, s1
	v_mov_b32_e32 v0, 0
	v_cndmask_b32_e32 v1, v2, v3, vcc
	global_store_dword v0, v1, s[0:1]
.LBB84_4:
	s_endpgm
	.section	.rodata,"a",@progbits
	.p2align	6, 0x0
	.amdhsa_kernel _Z19reduce_array_kernelILj255ELj15ELN6hipcub20BlockReduceAlgorithmE1EfEvPT2_S3_
		.amdhsa_group_segment_fixed_size 1020
		.amdhsa_private_segment_fixed_size 0
		.amdhsa_kernarg_size 16
		.amdhsa_user_sgpr_count 6
		.amdhsa_user_sgpr_private_segment_buffer 1
		.amdhsa_user_sgpr_dispatch_ptr 0
		.amdhsa_user_sgpr_queue_ptr 0
		.amdhsa_user_sgpr_kernarg_segment_ptr 1
		.amdhsa_user_sgpr_dispatch_id 0
		.amdhsa_user_sgpr_flat_scratch_init 0
		.amdhsa_user_sgpr_private_segment_size 0
		.amdhsa_uses_dynamic_stack 0
		.amdhsa_system_sgpr_private_segment_wavefront_offset 0
		.amdhsa_system_sgpr_workgroup_id_x 1
		.amdhsa_system_sgpr_workgroup_id_y 0
		.amdhsa_system_sgpr_workgroup_id_z 0
		.amdhsa_system_sgpr_workgroup_info 0
		.amdhsa_system_vgpr_workitem_id 0
		.amdhsa_next_free_vgpr 19
		.amdhsa_next_free_sgpr 8
		.amdhsa_reserve_vcc 1
		.amdhsa_reserve_flat_scratch 0
		.amdhsa_float_round_mode_32 0
		.amdhsa_float_round_mode_16_64 0
		.amdhsa_float_denorm_mode_32 3
		.amdhsa_float_denorm_mode_16_64 3
		.amdhsa_dx10_clamp 1
		.amdhsa_ieee_mode 1
		.amdhsa_fp16_overflow 0
		.amdhsa_exception_fp_ieee_invalid_op 0
		.amdhsa_exception_fp_denorm_src 0
		.amdhsa_exception_fp_ieee_div_zero 0
		.amdhsa_exception_fp_ieee_overflow 0
		.amdhsa_exception_fp_ieee_underflow 0
		.amdhsa_exception_fp_ieee_inexact 0
		.amdhsa_exception_int_div_zero 0
	.end_amdhsa_kernel
	.section	.text._Z19reduce_array_kernelILj255ELj15ELN6hipcub20BlockReduceAlgorithmE1EfEvPT2_S3_,"axG",@progbits,_Z19reduce_array_kernelILj255ELj15ELN6hipcub20BlockReduceAlgorithmE1EfEvPT2_S3_,comdat
.Lfunc_end84:
	.size	_Z19reduce_array_kernelILj255ELj15ELN6hipcub20BlockReduceAlgorithmE1EfEvPT2_S3_, .Lfunc_end84-_Z19reduce_array_kernelILj255ELj15ELN6hipcub20BlockReduceAlgorithmE1EfEvPT2_S3_
                                        ; -- End function
	.set _Z19reduce_array_kernelILj255ELj15ELN6hipcub20BlockReduceAlgorithmE1EfEvPT2_S3_.num_vgpr, 19
	.set _Z19reduce_array_kernelILj255ELj15ELN6hipcub20BlockReduceAlgorithmE1EfEvPT2_S3_.num_agpr, 0
	.set _Z19reduce_array_kernelILj255ELj15ELN6hipcub20BlockReduceAlgorithmE1EfEvPT2_S3_.numbered_sgpr, 8
	.set _Z19reduce_array_kernelILj255ELj15ELN6hipcub20BlockReduceAlgorithmE1EfEvPT2_S3_.num_named_barrier, 0
	.set _Z19reduce_array_kernelILj255ELj15ELN6hipcub20BlockReduceAlgorithmE1EfEvPT2_S3_.private_seg_size, 0
	.set _Z19reduce_array_kernelILj255ELj15ELN6hipcub20BlockReduceAlgorithmE1EfEvPT2_S3_.uses_vcc, 1
	.set _Z19reduce_array_kernelILj255ELj15ELN6hipcub20BlockReduceAlgorithmE1EfEvPT2_S3_.uses_flat_scratch, 0
	.set _Z19reduce_array_kernelILj255ELj15ELN6hipcub20BlockReduceAlgorithmE1EfEvPT2_S3_.has_dyn_sized_stack, 0
	.set _Z19reduce_array_kernelILj255ELj15ELN6hipcub20BlockReduceAlgorithmE1EfEvPT2_S3_.has_recursion, 0
	.set _Z19reduce_array_kernelILj255ELj15ELN6hipcub20BlockReduceAlgorithmE1EfEvPT2_S3_.has_indirect_call, 0
	.section	.AMDGPU.csdata,"",@progbits
; Kernel info:
; codeLenInByte = 1116
; TotalNumSgprs: 12
; NumVgprs: 19
; ScratchSize: 0
; MemoryBound: 0
; FloatMode: 240
; IeeeMode: 1
; LDSByteSize: 1020 bytes/workgroup (compile time only)
; SGPRBlocks: 1
; VGPRBlocks: 4
; NumSGPRsForWavesPerEU: 12
; NumVGPRsForWavesPerEU: 19
; Occupancy: 10
; WaveLimiterHint : 0
; COMPUTE_PGM_RSRC2:SCRATCH_EN: 0
; COMPUTE_PGM_RSRC2:USER_SGPR: 6
; COMPUTE_PGM_RSRC2:TRAP_HANDLER: 0
; COMPUTE_PGM_RSRC2:TGID_X_EN: 1
; COMPUTE_PGM_RSRC2:TGID_Y_EN: 0
; COMPUTE_PGM_RSRC2:TGID_Z_EN: 0
; COMPUTE_PGM_RSRC2:TIDIG_COMP_CNT: 0
	.section	.text._Z19reduce_array_kernelILj162ELj7ELN6hipcub20BlockReduceAlgorithmE1EfEvPT2_S3_,"axG",@progbits,_Z19reduce_array_kernelILj162ELj7ELN6hipcub20BlockReduceAlgorithmE1EfEvPT2_S3_,comdat
	.protected	_Z19reduce_array_kernelILj162ELj7ELN6hipcub20BlockReduceAlgorithmE1EfEvPT2_S3_ ; -- Begin function _Z19reduce_array_kernelILj162ELj7ELN6hipcub20BlockReduceAlgorithmE1EfEvPT2_S3_
	.globl	_Z19reduce_array_kernelILj162ELj7ELN6hipcub20BlockReduceAlgorithmE1EfEvPT2_S3_
	.p2align	8
	.type	_Z19reduce_array_kernelILj162ELj7ELN6hipcub20BlockReduceAlgorithmE1EfEvPT2_S3_,@function
_Z19reduce_array_kernelILj162ELj7ELN6hipcub20BlockReduceAlgorithmE1EfEvPT2_S3_: ; @_Z19reduce_array_kernelILj162ELj7ELN6hipcub20BlockReduceAlgorithmE1EfEvPT2_S3_
; %bb.0:
	s_load_dwordx4 s[0:3], s[4:5], 0x0
	s_mul_i32 s4, s6, 0xa2
	v_add_u32_e32 v1, s4, v0
	v_mul_lo_u32 v1, v1, 7
	v_mov_b32_e32 v2, 0
	s_waitcnt lgkmcnt(0)
	v_mov_b32_e32 v5, s1
	v_mov_b32_e32 v6, v2
	v_lshlrev_b64 v[3:4], 2, v[1:2]
	v_mov_b32_e32 v7, s1
	v_add_co_u32_e32 v3, vcc, s0, v3
	v_addc_co_u32_e32 v4, vcc, v5, v4, vcc
	v_add_u32_e32 v5, 1, v1
	v_lshlrev_b64 v[5:6], 2, v[5:6]
	v_mov_b32_e32 v8, v2
	v_add_co_u32_e32 v5, vcc, s0, v5
	v_addc_co_u32_e32 v6, vcc, v7, v6, vcc
	v_add_u32_e32 v7, 2, v1
	;; [unrolled: 5-line block ×3, first 2 shown]
	v_mov_b32_e32 v10, v2
	v_lshlrev_b64 v[9:10], 2, v[9:10]
	v_mov_b32_e32 v11, s1
	v_add_co_u32_e32 v9, vcc, s0, v9
	v_addc_co_u32_e32 v10, vcc, v11, v10, vcc
	v_add_u32_e32 v11, 4, v1
	v_mov_b32_e32 v12, v2
	v_lshlrev_b64 v[11:12], 2, v[11:12]
	v_mov_b32_e32 v13, s1
	v_add_co_u32_e32 v11, vcc, s0, v11
	v_addc_co_u32_e32 v12, vcc, v13, v12, vcc
	v_add_u32_e32 v13, 5, v1
	v_mov_b32_e32 v14, v2
	v_lshlrev_b64 v[13:14], 2, v[13:14]
	v_mov_b32_e32 v15, s1
	v_add_co_u32_e32 v13, vcc, s0, v13
	v_add_u32_e32 v1, 6, v1
	v_addc_co_u32_e32 v14, vcc, v15, v14, vcc
	v_lshlrev_b64 v[15:16], 2, v[1:2]
	v_mov_b32_e32 v1, s1
	v_add_co_u32_e32 v15, vcc, s0, v15
	v_addc_co_u32_e32 v16, vcc, v1, v16, vcc
	global_load_dword v17, v[3:4], off
	global_load_dword v18, v[5:6], off
	global_load_dword v19, v[7:8], off
	global_load_dword v20, v[9:10], off
	global_load_dword v21, v[11:12], off
	global_load_dword v22, v[13:14], off
	global_load_dword v23, v[15:16], off
	v_lshlrev_b32_e32 v3, 2, v0
	v_lshl_add_u32 v5, v0, 3, v3
	v_mbcnt_lo_u32_b32 v1, -1, 0
	v_mbcnt_hi_u32_b32 v1, -1, v1
	v_and_b32_e32 v6, 63, v1
	v_cmp_ne_u32_e32 vcc, 63, v6
	v_addc_co_u32_e32 v7, vcc, 0, v1, vcc
	v_lshlrev_b32_e32 v7, 2, v7
	v_cmp_gt_u32_e32 vcc, 62, v6
	s_mov_b32 s7, 0
	s_waitcnt vmcnt(5)
	v_add_f32_e32 v4, v17, v18
	s_waitcnt vmcnt(4)
	v_add_f32_e32 v4, v19, v4
	;; [unrolled: 2-line block ×6, first 2 shown]
	ds_write_b32 v3, v4
	s_waitcnt lgkmcnt(0)
	s_barrier
	ds_read2_b32 v[3:4], v5 offset1:1
	ds_read_b32 v5, v5 offset:8
	s_waitcnt lgkmcnt(1)
	v_add_f32_e32 v3, v3, v4
	s_waitcnt lgkmcnt(0)
	v_add_f32_e32 v3, v3, v5
	ds_bpermute_b32 v4, v7, v3
	v_add_u32_e32 v5, 1, v1
	v_cndmask_b32_e64 v7, 0, 2, vcc
	v_cmp_gt_u32_e32 vcc, 54, v5
	v_add_lshl_u32 v7, v7, v1, 2
	s_waitcnt lgkmcnt(0)
	v_add_f32_e32 v4, v3, v4
	v_cndmask_b32_e32 v3, v3, v4, vcc
	ds_bpermute_b32 v4, v7, v3
	v_add_u32_e32 v5, 2, v1
	v_cmp_gt_u32_e32 vcc, 60, v6
	v_cndmask_b32_e64 v7, 0, 4, vcc
	v_cmp_gt_u32_e32 vcc, 54, v5
	s_waitcnt lgkmcnt(0)
	v_add_f32_e32 v4, v3, v4
	v_add_lshl_u32 v7, v7, v1, 2
	v_cndmask_b32_e32 v3, v3, v4, vcc
	ds_bpermute_b32 v4, v7, v3
	v_add_u32_e32 v5, 4, v1
	v_cmp_gt_u32_e32 vcc, 56, v6
	v_cndmask_b32_e64 v7, 0, 8, vcc
	v_cmp_gt_u32_e32 vcc, 54, v5
	s_waitcnt lgkmcnt(0)
	v_add_f32_e32 v4, v3, v4
	v_add_lshl_u32 v7, v7, v1, 2
	;; [unrolled: 9-line block ×3, first 2 shown]
	v_cndmask_b32_e32 v3, v3, v4, vcc
	ds_bpermute_b32 v4, v6, v3
	v_add_u32_e32 v6, 16, v1
	v_mov_b32_e32 v5, 0x80
	v_cmp_gt_u32_e32 vcc, 54, v6
	s_waitcnt lgkmcnt(0)
	v_add_f32_e32 v4, v3, v4
	v_cndmask_b32_e32 v3, v3, v4, vcc
	v_lshl_or_b32 v4, v1, 2, v5
	ds_bpermute_b32 v4, v4, v3
	v_cmp_eq_u32_e32 vcc, 0, v0
	s_and_saveexec_b64 s[0:1], vcc
	s_cbranch_execz .LBB85_2
; %bb.1:
	s_lshl_b64 s[0:1], s[6:7], 2
	v_add_u32_e32 v0, 32, v1
	s_add_u32 s0, s2, s0
	s_waitcnt lgkmcnt(0)
	v_add_f32_e32 v1, v3, v4
	v_cmp_gt_u32_e32 vcc, 54, v0
	s_addc_u32 s1, s3, s1
	v_cndmask_b32_e32 v0, v3, v1, vcc
	global_store_dword v2, v0, s[0:1]
.LBB85_2:
	s_endpgm
	.section	.rodata,"a",@progbits
	.p2align	6, 0x0
	.amdhsa_kernel _Z19reduce_array_kernelILj162ELj7ELN6hipcub20BlockReduceAlgorithmE1EfEvPT2_S3_
		.amdhsa_group_segment_fixed_size 648
		.amdhsa_private_segment_fixed_size 0
		.amdhsa_kernarg_size 16
		.amdhsa_user_sgpr_count 6
		.amdhsa_user_sgpr_private_segment_buffer 1
		.amdhsa_user_sgpr_dispatch_ptr 0
		.amdhsa_user_sgpr_queue_ptr 0
		.amdhsa_user_sgpr_kernarg_segment_ptr 1
		.amdhsa_user_sgpr_dispatch_id 0
		.amdhsa_user_sgpr_flat_scratch_init 0
		.amdhsa_user_sgpr_private_segment_size 0
		.amdhsa_uses_dynamic_stack 0
		.amdhsa_system_sgpr_private_segment_wavefront_offset 0
		.amdhsa_system_sgpr_workgroup_id_x 1
		.amdhsa_system_sgpr_workgroup_id_y 0
		.amdhsa_system_sgpr_workgroup_id_z 0
		.amdhsa_system_sgpr_workgroup_info 0
		.amdhsa_system_vgpr_workitem_id 0
		.amdhsa_next_free_vgpr 24
		.amdhsa_next_free_sgpr 8
		.amdhsa_reserve_vcc 1
		.amdhsa_reserve_flat_scratch 0
		.amdhsa_float_round_mode_32 0
		.amdhsa_float_round_mode_16_64 0
		.amdhsa_float_denorm_mode_32 3
		.amdhsa_float_denorm_mode_16_64 3
		.amdhsa_dx10_clamp 1
		.amdhsa_ieee_mode 1
		.amdhsa_fp16_overflow 0
		.amdhsa_exception_fp_ieee_invalid_op 0
		.amdhsa_exception_fp_denorm_src 0
		.amdhsa_exception_fp_ieee_div_zero 0
		.amdhsa_exception_fp_ieee_overflow 0
		.amdhsa_exception_fp_ieee_underflow 0
		.amdhsa_exception_fp_ieee_inexact 0
		.amdhsa_exception_int_div_zero 0
	.end_amdhsa_kernel
	.section	.text._Z19reduce_array_kernelILj162ELj7ELN6hipcub20BlockReduceAlgorithmE1EfEvPT2_S3_,"axG",@progbits,_Z19reduce_array_kernelILj162ELj7ELN6hipcub20BlockReduceAlgorithmE1EfEvPT2_S3_,comdat
.Lfunc_end85:
	.size	_Z19reduce_array_kernelILj162ELj7ELN6hipcub20BlockReduceAlgorithmE1EfEvPT2_S3_, .Lfunc_end85-_Z19reduce_array_kernelILj162ELj7ELN6hipcub20BlockReduceAlgorithmE1EfEvPT2_S3_
                                        ; -- End function
	.set _Z19reduce_array_kernelILj162ELj7ELN6hipcub20BlockReduceAlgorithmE1EfEvPT2_S3_.num_vgpr, 24
	.set _Z19reduce_array_kernelILj162ELj7ELN6hipcub20BlockReduceAlgorithmE1EfEvPT2_S3_.num_agpr, 0
	.set _Z19reduce_array_kernelILj162ELj7ELN6hipcub20BlockReduceAlgorithmE1EfEvPT2_S3_.numbered_sgpr, 8
	.set _Z19reduce_array_kernelILj162ELj7ELN6hipcub20BlockReduceAlgorithmE1EfEvPT2_S3_.num_named_barrier, 0
	.set _Z19reduce_array_kernelILj162ELj7ELN6hipcub20BlockReduceAlgorithmE1EfEvPT2_S3_.private_seg_size, 0
	.set _Z19reduce_array_kernelILj162ELj7ELN6hipcub20BlockReduceAlgorithmE1EfEvPT2_S3_.uses_vcc, 1
	.set _Z19reduce_array_kernelILj162ELj7ELN6hipcub20BlockReduceAlgorithmE1EfEvPT2_S3_.uses_flat_scratch, 0
	.set _Z19reduce_array_kernelILj162ELj7ELN6hipcub20BlockReduceAlgorithmE1EfEvPT2_S3_.has_dyn_sized_stack, 0
	.set _Z19reduce_array_kernelILj162ELj7ELN6hipcub20BlockReduceAlgorithmE1EfEvPT2_S3_.has_recursion, 0
	.set _Z19reduce_array_kernelILj162ELj7ELN6hipcub20BlockReduceAlgorithmE1EfEvPT2_S3_.has_indirect_call, 0
	.section	.AMDGPU.csdata,"",@progbits
; Kernel info:
; codeLenInByte = 720
; TotalNumSgprs: 12
; NumVgprs: 24
; ScratchSize: 0
; MemoryBound: 0
; FloatMode: 240
; IeeeMode: 1
; LDSByteSize: 648 bytes/workgroup (compile time only)
; SGPRBlocks: 1
; VGPRBlocks: 5
; NumSGPRsForWavesPerEU: 12
; NumVGPRsForWavesPerEU: 24
; Occupancy: 10
; WaveLimiterHint : 0
; COMPUTE_PGM_RSRC2:SCRATCH_EN: 0
; COMPUTE_PGM_RSRC2:USER_SGPR: 6
; COMPUTE_PGM_RSRC2:TRAP_HANDLER: 0
; COMPUTE_PGM_RSRC2:TGID_X_EN: 1
; COMPUTE_PGM_RSRC2:TGID_Y_EN: 0
; COMPUTE_PGM_RSRC2:TGID_Z_EN: 0
; COMPUTE_PGM_RSRC2:TIDIG_COMP_CNT: 0
	.section	.text._Z19reduce_array_kernelILj65ELj5ELN6hipcub20BlockReduceAlgorithmE1EfEvPT2_S3_,"axG",@progbits,_Z19reduce_array_kernelILj65ELj5ELN6hipcub20BlockReduceAlgorithmE1EfEvPT2_S3_,comdat
	.protected	_Z19reduce_array_kernelILj65ELj5ELN6hipcub20BlockReduceAlgorithmE1EfEvPT2_S3_ ; -- Begin function _Z19reduce_array_kernelILj65ELj5ELN6hipcub20BlockReduceAlgorithmE1EfEvPT2_S3_
	.globl	_Z19reduce_array_kernelILj65ELj5ELN6hipcub20BlockReduceAlgorithmE1EfEvPT2_S3_
	.p2align	8
	.type	_Z19reduce_array_kernelILj65ELj5ELN6hipcub20BlockReduceAlgorithmE1EfEvPT2_S3_,@function
_Z19reduce_array_kernelILj65ELj5ELN6hipcub20BlockReduceAlgorithmE1EfEvPT2_S3_: ; @_Z19reduce_array_kernelILj65ELj5ELN6hipcub20BlockReduceAlgorithmE1EfEvPT2_S3_
; %bb.0:
	s_load_dwordx4 s[0:3], s[4:5], 0x0
	s_mul_i32 s4, s6, 0x41
	v_add_u32_e32 v1, s4, v0
	v_lshl_add_u32 v1, v1, 2, v1
	v_mov_b32_e32 v2, 0
	v_lshlrev_b64 v[3:4], 2, v[1:2]
	s_waitcnt lgkmcnt(0)
	v_mov_b32_e32 v5, s1
	v_add_co_u32_e32 v3, vcc, s0, v3
	v_addc_co_u32_e32 v4, vcc, v5, v4, vcc
	v_add_u32_e32 v5, 1, v1
	v_mov_b32_e32 v6, v2
	v_lshlrev_b64 v[5:6], 2, v[5:6]
	v_mov_b32_e32 v7, s1
	v_add_co_u32_e32 v5, vcc, s0, v5
	v_addc_co_u32_e32 v6, vcc, v7, v6, vcc
	v_add_u32_e32 v7, 2, v1
	v_mov_b32_e32 v8, v2
	v_lshlrev_b64 v[7:8], 2, v[7:8]
	;; [unrolled: 6-line block ×3, first 2 shown]
	v_add_u32_e32 v1, 4, v1
	v_mov_b32_e32 v11, s1
	v_add_co_u32_e32 v9, vcc, s0, v9
	v_lshlrev_b64 v[1:2], 2, v[1:2]
	v_addc_co_u32_e32 v10, vcc, v11, v10, vcc
	v_add_co_u32_e32 v1, vcc, s0, v1
	v_addc_co_u32_e32 v2, vcc, v11, v2, vcc
	global_load_dword v11, v[3:4], off
	global_load_dword v12, v[5:6], off
	;; [unrolled: 1-line block ×5, first 2 shown]
	v_lshlrev_b32_e32 v2, 2, v0
	v_add_u32_e32 v1, v2, v2
	s_movk_i32 s0, 0x41
	s_waitcnt vmcnt(3)
	v_add_f32_e32 v3, v11, v12
	s_waitcnt vmcnt(2)
	v_add_f32_e32 v3, v13, v3
	;; [unrolled: 2-line block ×4, first 2 shown]
	ds_write_b32 v2, v3
	s_waitcnt lgkmcnt(0)
	s_barrier
	ds_read_b32 v2, v1
	v_lshl_or_b32 v3, v0, 1, 1
	v_cmp_gt_u32_e32 vcc, s0, v3
	s_and_saveexec_b64 s[0:1], vcc
	s_cbranch_execz .LBB86_2
; %bb.1:
	ds_read_b32 v1, v1 offset:4
	s_waitcnt lgkmcnt(0)
	v_add_f32_e32 v2, v2, v1
.LBB86_2:
	s_or_b64 exec, exec, s[0:1]
	v_mbcnt_lo_u32_b32 v1, -1, 0
	v_mbcnt_hi_u32_b32 v1, -1, v1
	v_and_b32_e32 v3, 63, v1
	v_cmp_ne_u32_e32 vcc, 63, v3
	v_addc_co_u32_e32 v4, vcc, 0, v1, vcc
	v_lshlrev_b32_e32 v4, 2, v4
	s_waitcnt lgkmcnt(0)
	ds_bpermute_b32 v4, v4, v2
	v_add_u32_e32 v5, 1, v1
	v_cmp_gt_u32_e32 vcc, 33, v5
	v_add_u32_e32 v5, 2, v1
	s_mov_b32 s7, 0
	s_waitcnt lgkmcnt(0)
	v_add_f32_e32 v4, v2, v4
	v_cndmask_b32_e32 v2, v2, v4, vcc
	v_cmp_gt_u32_e32 vcc, 62, v3
	v_cndmask_b32_e64 v4, 0, 2, vcc
	v_add_lshl_u32 v4, v4, v1, 2
	ds_bpermute_b32 v4, v4, v2
	v_cmp_gt_u32_e32 vcc, 33, v5
	v_add_u32_e32 v5, 4, v1
	s_waitcnt lgkmcnt(0)
	v_add_f32_e32 v4, v2, v4
	v_cndmask_b32_e32 v2, v2, v4, vcc
	v_cmp_gt_u32_e32 vcc, 60, v3
	v_cndmask_b32_e64 v4, 0, 4, vcc
	v_add_lshl_u32 v4, v4, v1, 2
	ds_bpermute_b32 v4, v4, v2
	v_cmp_gt_u32_e32 vcc, 33, v5
	v_add_u32_e32 v5, 8, v1
	s_waitcnt lgkmcnt(0)
	v_add_f32_e32 v4, v2, v4
	v_cndmask_b32_e32 v2, v2, v4, vcc
	v_cmp_gt_u32_e32 vcc, 56, v3
	v_cndmask_b32_e64 v4, 0, 8, vcc
	v_add_lshl_u32 v4, v4, v1, 2
	ds_bpermute_b32 v4, v4, v2
	v_cmp_gt_u32_e32 vcc, 33, v5
	s_waitcnt lgkmcnt(0)
	v_add_f32_e32 v4, v2, v4
	v_cndmask_b32_e32 v2, v2, v4, vcc
	v_cmp_gt_u32_e32 vcc, 48, v3
	v_cndmask_b32_e64 v3, 0, 16, vcc
	v_add_lshl_u32 v3, v3, v1, 2
	ds_bpermute_b32 v3, v3, v2
	v_add_u32_e32 v4, 16, v1
	v_cmp_gt_u32_e32 vcc, 33, v4
	s_waitcnt lgkmcnt(0)
	v_add_f32_e32 v3, v2, v3
	v_cndmask_b32_e32 v2, v2, v3, vcc
	v_mov_b32_e32 v3, 0x80
	v_lshl_or_b32 v3, v1, 2, v3
	ds_bpermute_b32 v3, v3, v2
	v_cmp_eq_u32_e32 vcc, 0, v0
	s_and_saveexec_b64 s[0:1], vcc
	s_cbranch_execz .LBB86_4
; %bb.3:
	s_lshl_b64 s[0:1], s[6:7], 2
	v_add_u32_e32 v1, 32, v1
	s_add_u32 s0, s2, s0
	s_waitcnt lgkmcnt(0)
	v_add_f32_e32 v3, v2, v3
	v_cmp_gt_u32_e32 vcc, 33, v1
	s_addc_u32 s1, s3, s1
	v_mov_b32_e32 v0, 0
	v_cndmask_b32_e32 v1, v2, v3, vcc
	global_store_dword v0, v1, s[0:1]
.LBB86_4:
	s_endpgm
	.section	.rodata,"a",@progbits
	.p2align	6, 0x0
	.amdhsa_kernel _Z19reduce_array_kernelILj65ELj5ELN6hipcub20BlockReduceAlgorithmE1EfEvPT2_S3_
		.amdhsa_group_segment_fixed_size 260
		.amdhsa_private_segment_fixed_size 0
		.amdhsa_kernarg_size 16
		.amdhsa_user_sgpr_count 6
		.amdhsa_user_sgpr_private_segment_buffer 1
		.amdhsa_user_sgpr_dispatch_ptr 0
		.amdhsa_user_sgpr_queue_ptr 0
		.amdhsa_user_sgpr_kernarg_segment_ptr 1
		.amdhsa_user_sgpr_dispatch_id 0
		.amdhsa_user_sgpr_flat_scratch_init 0
		.amdhsa_user_sgpr_private_segment_size 0
		.amdhsa_uses_dynamic_stack 0
		.amdhsa_system_sgpr_private_segment_wavefront_offset 0
		.amdhsa_system_sgpr_workgroup_id_x 1
		.amdhsa_system_sgpr_workgroup_id_y 0
		.amdhsa_system_sgpr_workgroup_id_z 0
		.amdhsa_system_sgpr_workgroup_info 0
		.amdhsa_system_vgpr_workitem_id 0
		.amdhsa_next_free_vgpr 16
		.amdhsa_next_free_sgpr 8
		.amdhsa_reserve_vcc 1
		.amdhsa_reserve_flat_scratch 0
		.amdhsa_float_round_mode_32 0
		.amdhsa_float_round_mode_16_64 0
		.amdhsa_float_denorm_mode_32 3
		.amdhsa_float_denorm_mode_16_64 3
		.amdhsa_dx10_clamp 1
		.amdhsa_ieee_mode 1
		.amdhsa_fp16_overflow 0
		.amdhsa_exception_fp_ieee_invalid_op 0
		.amdhsa_exception_fp_denorm_src 0
		.amdhsa_exception_fp_ieee_div_zero 0
		.amdhsa_exception_fp_ieee_overflow 0
		.amdhsa_exception_fp_ieee_underflow 0
		.amdhsa_exception_fp_ieee_inexact 0
		.amdhsa_exception_int_div_zero 0
	.end_amdhsa_kernel
	.section	.text._Z19reduce_array_kernelILj65ELj5ELN6hipcub20BlockReduceAlgorithmE1EfEvPT2_S3_,"axG",@progbits,_Z19reduce_array_kernelILj65ELj5ELN6hipcub20BlockReduceAlgorithmE1EfEvPT2_S3_,comdat
.Lfunc_end86:
	.size	_Z19reduce_array_kernelILj65ELj5ELN6hipcub20BlockReduceAlgorithmE1EfEvPT2_S3_, .Lfunc_end86-_Z19reduce_array_kernelILj65ELj5ELN6hipcub20BlockReduceAlgorithmE1EfEvPT2_S3_
                                        ; -- End function
	.set _Z19reduce_array_kernelILj65ELj5ELN6hipcub20BlockReduceAlgorithmE1EfEvPT2_S3_.num_vgpr, 16
	.set _Z19reduce_array_kernelILj65ELj5ELN6hipcub20BlockReduceAlgorithmE1EfEvPT2_S3_.num_agpr, 0
	.set _Z19reduce_array_kernelILj65ELj5ELN6hipcub20BlockReduceAlgorithmE1EfEvPT2_S3_.numbered_sgpr, 8
	.set _Z19reduce_array_kernelILj65ELj5ELN6hipcub20BlockReduceAlgorithmE1EfEvPT2_S3_.num_named_barrier, 0
	.set _Z19reduce_array_kernelILj65ELj5ELN6hipcub20BlockReduceAlgorithmE1EfEvPT2_S3_.private_seg_size, 0
	.set _Z19reduce_array_kernelILj65ELj5ELN6hipcub20BlockReduceAlgorithmE1EfEvPT2_S3_.uses_vcc, 1
	.set _Z19reduce_array_kernelILj65ELj5ELN6hipcub20BlockReduceAlgorithmE1EfEvPT2_S3_.uses_flat_scratch, 0
	.set _Z19reduce_array_kernelILj65ELj5ELN6hipcub20BlockReduceAlgorithmE1EfEvPT2_S3_.has_dyn_sized_stack, 0
	.set _Z19reduce_array_kernelILj65ELj5ELN6hipcub20BlockReduceAlgorithmE1EfEvPT2_S3_.has_recursion, 0
	.set _Z19reduce_array_kernelILj65ELj5ELN6hipcub20BlockReduceAlgorithmE1EfEvPT2_S3_.has_indirect_call, 0
	.section	.AMDGPU.csdata,"",@progbits
; Kernel info:
; codeLenInByte = 652
; TotalNumSgprs: 12
; NumVgprs: 16
; ScratchSize: 0
; MemoryBound: 0
; FloatMode: 240
; IeeeMode: 1
; LDSByteSize: 260 bytes/workgroup (compile time only)
; SGPRBlocks: 1
; VGPRBlocks: 3
; NumSGPRsForWavesPerEU: 12
; NumVGPRsForWavesPerEU: 16
; Occupancy: 10
; WaveLimiterHint : 0
; COMPUTE_PGM_RSRC2:SCRATCH_EN: 0
; COMPUTE_PGM_RSRC2:USER_SGPR: 6
; COMPUTE_PGM_RSRC2:TRAP_HANDLER: 0
; COMPUTE_PGM_RSRC2:TGID_X_EN: 1
; COMPUTE_PGM_RSRC2:TGID_Y_EN: 0
; COMPUTE_PGM_RSRC2:TGID_Z_EN: 0
; COMPUTE_PGM_RSRC2:TIDIG_COMP_CNT: 0
	.section	.text._Z19reduce_array_kernelILj37ELj2ELN6hipcub20BlockReduceAlgorithmE1EfEvPT2_S3_,"axG",@progbits,_Z19reduce_array_kernelILj37ELj2ELN6hipcub20BlockReduceAlgorithmE1EfEvPT2_S3_,comdat
	.protected	_Z19reduce_array_kernelILj37ELj2ELN6hipcub20BlockReduceAlgorithmE1EfEvPT2_S3_ ; -- Begin function _Z19reduce_array_kernelILj37ELj2ELN6hipcub20BlockReduceAlgorithmE1EfEvPT2_S3_
	.globl	_Z19reduce_array_kernelILj37ELj2ELN6hipcub20BlockReduceAlgorithmE1EfEvPT2_S3_
	.p2align	8
	.type	_Z19reduce_array_kernelILj37ELj2ELN6hipcub20BlockReduceAlgorithmE1EfEvPT2_S3_,@function
_Z19reduce_array_kernelILj37ELj2ELN6hipcub20BlockReduceAlgorithmE1EfEvPT2_S3_: ; @_Z19reduce_array_kernelILj37ELj2ELN6hipcub20BlockReduceAlgorithmE1EfEvPT2_S3_
; %bb.0:
	s_load_dwordx4 s[0:3], s[4:5], 0x0
	s_mul_i32 s4, s6, 37
	v_add_lshl_u32 v1, s4, v0, 1
	v_mov_b32_e32 v2, 0
	v_lshlrev_b64 v[3:4], 2, v[1:2]
	s_waitcnt lgkmcnt(0)
	v_mov_b32_e32 v1, s1
	v_add_co_u32_e32 v3, vcc, s0, v3
	v_addc_co_u32_e32 v4, vcc, v1, v4, vcc
	global_load_dwordx2 v[3:4], v[3:4], off
	v_mbcnt_lo_u32_b32 v1, -1, 0
	v_lshlrev_b32_e32 v5, 2, v0
	v_mbcnt_hi_u32_b32 v1, -1, v1
	v_and_b32_e32 v6, 63, v1
	v_cmp_ne_u32_e32 vcc, 63, v6
	s_mov_b32 s7, 0
	s_waitcnt vmcnt(0)
	v_add_f32_e32 v3, v3, v4
	ds_write_b32 v5, v3
	s_waitcnt lgkmcnt(0)
	; wave barrier
	ds_read_b32 v3, v5
	v_addc_co_u32_e32 v4, vcc, 0, v1, vcc
	v_lshlrev_b32_e32 v4, 2, v4
	v_add_u32_e32 v5, 1, v1
	s_waitcnt lgkmcnt(0)
	ds_bpermute_b32 v4, v4, v3
	v_cmp_gt_u32_e32 vcc, 62, v6
	v_cndmask_b32_e64 v7, 0, 2, vcc
	v_cmp_gt_u32_e32 vcc, 37, v5
	v_add_lshl_u32 v7, v7, v1, 2
	s_waitcnt lgkmcnt(0)
	v_add_f32_e32 v4, v3, v4
	v_cndmask_b32_e32 v3, v3, v4, vcc
	ds_bpermute_b32 v4, v7, v3
	v_add_u32_e32 v5, 2, v1
	v_cmp_gt_u32_e32 vcc, 60, v6
	v_cndmask_b32_e64 v7, 0, 4, vcc
	v_cmp_gt_u32_e32 vcc, 37, v5
	s_waitcnt lgkmcnt(0)
	v_add_f32_e32 v4, v3, v4
	v_add_lshl_u32 v7, v7, v1, 2
	v_cndmask_b32_e32 v3, v3, v4, vcc
	ds_bpermute_b32 v4, v7, v3
	v_add_u32_e32 v5, 4, v1
	v_cmp_gt_u32_e32 vcc, 56, v6
	v_cndmask_b32_e64 v7, 0, 8, vcc
	v_cmp_gt_u32_e32 vcc, 37, v5
	s_waitcnt lgkmcnt(0)
	v_add_f32_e32 v4, v3, v4
	v_add_lshl_u32 v7, v7, v1, 2
	;; [unrolled: 9-line block ×3, first 2 shown]
	v_cndmask_b32_e32 v3, v3, v4, vcc
	ds_bpermute_b32 v4, v6, v3
	v_add_u32_e32 v6, 16, v1
	v_mov_b32_e32 v5, 0x80
	v_cmp_gt_u32_e32 vcc, 37, v6
	s_waitcnt lgkmcnt(0)
	v_add_f32_e32 v4, v3, v4
	v_cndmask_b32_e32 v3, v3, v4, vcc
	v_lshl_or_b32 v4, v1, 2, v5
	ds_bpermute_b32 v4, v4, v3
	v_cmp_eq_u32_e32 vcc, 0, v0
	s_and_saveexec_b64 s[0:1], vcc
	s_cbranch_execz .LBB87_2
; %bb.1:
	s_lshl_b64 s[0:1], s[6:7], 2
	v_add_u32_e32 v0, 32, v1
	s_add_u32 s0, s2, s0
	s_waitcnt lgkmcnt(0)
	v_add_f32_e32 v1, v3, v4
	v_cmp_gt_u32_e32 vcc, 37, v0
	s_addc_u32 s1, s3, s1
	v_cndmask_b32_e32 v0, v3, v1, vcc
	global_store_dword v2, v0, s[0:1]
.LBB87_2:
	s_endpgm
	.section	.rodata,"a",@progbits
	.p2align	6, 0x0
	.amdhsa_kernel _Z19reduce_array_kernelILj37ELj2ELN6hipcub20BlockReduceAlgorithmE1EfEvPT2_S3_
		.amdhsa_group_segment_fixed_size 148
		.amdhsa_private_segment_fixed_size 0
		.amdhsa_kernarg_size 16
		.amdhsa_user_sgpr_count 6
		.amdhsa_user_sgpr_private_segment_buffer 1
		.amdhsa_user_sgpr_dispatch_ptr 0
		.amdhsa_user_sgpr_queue_ptr 0
		.amdhsa_user_sgpr_kernarg_segment_ptr 1
		.amdhsa_user_sgpr_dispatch_id 0
		.amdhsa_user_sgpr_flat_scratch_init 0
		.amdhsa_user_sgpr_private_segment_size 0
		.amdhsa_uses_dynamic_stack 0
		.amdhsa_system_sgpr_private_segment_wavefront_offset 0
		.amdhsa_system_sgpr_workgroup_id_x 1
		.amdhsa_system_sgpr_workgroup_id_y 0
		.amdhsa_system_sgpr_workgroup_id_z 0
		.amdhsa_system_sgpr_workgroup_info 0
		.amdhsa_system_vgpr_workitem_id 0
		.amdhsa_next_free_vgpr 8
		.amdhsa_next_free_sgpr 8
		.amdhsa_reserve_vcc 1
		.amdhsa_reserve_flat_scratch 0
		.amdhsa_float_round_mode_32 0
		.amdhsa_float_round_mode_16_64 0
		.amdhsa_float_denorm_mode_32 3
		.amdhsa_float_denorm_mode_16_64 3
		.amdhsa_dx10_clamp 1
		.amdhsa_ieee_mode 1
		.amdhsa_fp16_overflow 0
		.amdhsa_exception_fp_ieee_invalid_op 0
		.amdhsa_exception_fp_denorm_src 0
		.amdhsa_exception_fp_ieee_div_zero 0
		.amdhsa_exception_fp_ieee_overflow 0
		.amdhsa_exception_fp_ieee_underflow 0
		.amdhsa_exception_fp_ieee_inexact 0
		.amdhsa_exception_int_div_zero 0
	.end_amdhsa_kernel
	.section	.text._Z19reduce_array_kernelILj37ELj2ELN6hipcub20BlockReduceAlgorithmE1EfEvPT2_S3_,"axG",@progbits,_Z19reduce_array_kernelILj37ELj2ELN6hipcub20BlockReduceAlgorithmE1EfEvPT2_S3_,comdat
.Lfunc_end87:
	.size	_Z19reduce_array_kernelILj37ELj2ELN6hipcub20BlockReduceAlgorithmE1EfEvPT2_S3_, .Lfunc_end87-_Z19reduce_array_kernelILj37ELj2ELN6hipcub20BlockReduceAlgorithmE1EfEvPT2_S3_
                                        ; -- End function
	.set _Z19reduce_array_kernelILj37ELj2ELN6hipcub20BlockReduceAlgorithmE1EfEvPT2_S3_.num_vgpr, 8
	.set _Z19reduce_array_kernelILj37ELj2ELN6hipcub20BlockReduceAlgorithmE1EfEvPT2_S3_.num_agpr, 0
	.set _Z19reduce_array_kernelILj37ELj2ELN6hipcub20BlockReduceAlgorithmE1EfEvPT2_S3_.numbered_sgpr, 8
	.set _Z19reduce_array_kernelILj37ELj2ELN6hipcub20BlockReduceAlgorithmE1EfEvPT2_S3_.num_named_barrier, 0
	.set _Z19reduce_array_kernelILj37ELj2ELN6hipcub20BlockReduceAlgorithmE1EfEvPT2_S3_.private_seg_size, 0
	.set _Z19reduce_array_kernelILj37ELj2ELN6hipcub20BlockReduceAlgorithmE1EfEvPT2_S3_.uses_vcc, 1
	.set _Z19reduce_array_kernelILj37ELj2ELN6hipcub20BlockReduceAlgorithmE1EfEvPT2_S3_.uses_flat_scratch, 0
	.set _Z19reduce_array_kernelILj37ELj2ELN6hipcub20BlockReduceAlgorithmE1EfEvPT2_S3_.has_dyn_sized_stack, 0
	.set _Z19reduce_array_kernelILj37ELj2ELN6hipcub20BlockReduceAlgorithmE1EfEvPT2_S3_.has_recursion, 0
	.set _Z19reduce_array_kernelILj37ELj2ELN6hipcub20BlockReduceAlgorithmE1EfEvPT2_S3_.has_indirect_call, 0
	.section	.AMDGPU.csdata,"",@progbits
; Kernel info:
; codeLenInByte = 428
; TotalNumSgprs: 12
; NumVgprs: 8
; ScratchSize: 0
; MemoryBound: 0
; FloatMode: 240
; IeeeMode: 1
; LDSByteSize: 148 bytes/workgroup (compile time only)
; SGPRBlocks: 1
; VGPRBlocks: 1
; NumSGPRsForWavesPerEU: 12
; NumVGPRsForWavesPerEU: 8
; Occupancy: 10
; WaveLimiterHint : 0
; COMPUTE_PGM_RSRC2:SCRATCH_EN: 0
; COMPUTE_PGM_RSRC2:USER_SGPR: 6
; COMPUTE_PGM_RSRC2:TRAP_HANDLER: 0
; COMPUTE_PGM_RSRC2:TGID_X_EN: 1
; COMPUTE_PGM_RSRC2:TGID_Y_EN: 0
; COMPUTE_PGM_RSRC2:TGID_Z_EN: 0
; COMPUTE_PGM_RSRC2:TIDIG_COMP_CNT: 0
	.section	.text._Z19reduce_array_kernelILj1024ELj1ELN6hipcub20BlockReduceAlgorithmE1EfEvPT2_S3_,"axG",@progbits,_Z19reduce_array_kernelILj1024ELj1ELN6hipcub20BlockReduceAlgorithmE1EfEvPT2_S3_,comdat
	.protected	_Z19reduce_array_kernelILj1024ELj1ELN6hipcub20BlockReduceAlgorithmE1EfEvPT2_S3_ ; -- Begin function _Z19reduce_array_kernelILj1024ELj1ELN6hipcub20BlockReduceAlgorithmE1EfEvPT2_S3_
	.globl	_Z19reduce_array_kernelILj1024ELj1ELN6hipcub20BlockReduceAlgorithmE1EfEvPT2_S3_
	.p2align	8
	.type	_Z19reduce_array_kernelILj1024ELj1ELN6hipcub20BlockReduceAlgorithmE1EfEvPT2_S3_,@function
_Z19reduce_array_kernelILj1024ELj1ELN6hipcub20BlockReduceAlgorithmE1EfEvPT2_S3_: ; @_Z19reduce_array_kernelILj1024ELj1ELN6hipcub20BlockReduceAlgorithmE1EfEvPT2_S3_
; %bb.0:
	s_load_dwordx4 s[0:3], s[4:5], 0x0
	v_lshl_or_b32 v1, s6, 10, v0
	v_mov_b32_e32 v2, 0
	v_lshlrev_b64 v[3:4], 2, v[1:2]
	v_mbcnt_lo_u32_b32 v7, -1, 0
	s_waitcnt lgkmcnt(0)
	v_mov_b32_e32 v1, s1
	v_add_co_u32_e32 v3, vcc, s0, v3
	v_addc_co_u32_e32 v4, vcc, v1, v4, vcc
	global_load_dword v1, v[3:4], off
	v_lshlrev_b32_e32 v3, 2, v0
	v_mad_u32_u24 v15, v0, 60, v3
	v_bfrev_b32_e32 v19, 0.5
	s_mov_b32 s7, 0
	v_cmp_eq_u32_e32 vcc, 0, v0
	s_waitcnt vmcnt(0)
	ds_write_b32 v3, v1
	s_waitcnt lgkmcnt(0)
	s_barrier
	ds_read2_b64 v[3:6], v15 offset1:1
	v_mbcnt_hi_u32_b32 v1, -1, v7
	ds_read2_b64 v[7:10], v15 offset0:2 offset1:3
	ds_read2_b64 v[11:14], v15 offset0:4 offset1:5
	;; [unrolled: 1-line block ×3, first 2 shown]
	v_lshl_or_b32 v1, v1, 2, v19
	s_waitcnt lgkmcnt(3)
	v_add_f32_e32 v3, v3, v4
	v_add_f32_e32 v3, v3, v5
	v_add_f32_e32 v3, v3, v6
	s_waitcnt lgkmcnt(2)
	v_add_f32_e32 v3, v3, v7
	v_add_f32_e32 v3, v3, v8
	v_add_f32_e32 v3, v3, v9
	v_add_f32_e32 v3, v3, v10
	s_waitcnt lgkmcnt(1)
	v_add_f32_e32 v3, v3, v11
	;; [unrolled: 5-line block ×3, first 2 shown]
	v_add_f32_e32 v3, v3, v16
	v_add_f32_e32 v3, v3, v17
	;; [unrolled: 1-line block ×3, first 2 shown]
	s_nop 1
	v_mov_b32_dpp v4, v3 quad_perm:[1,0,3,2] row_mask:0xf bank_mask:0xf
	v_add_f32_e32 v3, v3, v4
	s_nop 1
	v_mov_b32_dpp v4, v3 quad_perm:[2,3,0,1] row_mask:0xf bank_mask:0xf
	v_add_f32_e32 v3, v3, v4
	s_nop 1
	v_mov_b32_dpp v4, v3 row_ror:4 row_mask:0xf bank_mask:0xf
	v_add_f32_e32 v3, v3, v4
	s_nop 1
	v_mov_b32_dpp v4, v3 row_ror:8 row_mask:0xf bank_mask:0xf
	v_add_f32_e32 v3, v3, v4
	s_nop 1
	v_mov_b32_dpp v4, v3 row_bcast:15 row_mask:0xf bank_mask:0xf
	v_add_f32_e32 v3, v3, v4
	s_nop 1
	v_mov_b32_dpp v4, v3 row_bcast:31 row_mask:0xf bank_mask:0xf
	v_add_f32_e32 v3, v3, v4
	ds_bpermute_b32 v1, v1, v3
	s_and_saveexec_b64 s[0:1], vcc
	s_cbranch_execz .LBB88_2
; %bb.1:
	s_lshl_b64 s[0:1], s[6:7], 2
	s_add_u32 s0, s2, s0
	s_addc_u32 s1, s3, s1
	s_waitcnt lgkmcnt(0)
	global_store_dword v2, v1, s[0:1]
.LBB88_2:
	s_endpgm
	.section	.rodata,"a",@progbits
	.p2align	6, 0x0
	.amdhsa_kernel _Z19reduce_array_kernelILj1024ELj1ELN6hipcub20BlockReduceAlgorithmE1EfEvPT2_S3_
		.amdhsa_group_segment_fixed_size 4096
		.amdhsa_private_segment_fixed_size 0
		.amdhsa_kernarg_size 16
		.amdhsa_user_sgpr_count 6
		.amdhsa_user_sgpr_private_segment_buffer 1
		.amdhsa_user_sgpr_dispatch_ptr 0
		.amdhsa_user_sgpr_queue_ptr 0
		.amdhsa_user_sgpr_kernarg_segment_ptr 1
		.amdhsa_user_sgpr_dispatch_id 0
		.amdhsa_user_sgpr_flat_scratch_init 0
		.amdhsa_user_sgpr_private_segment_size 0
		.amdhsa_uses_dynamic_stack 0
		.amdhsa_system_sgpr_private_segment_wavefront_offset 0
		.amdhsa_system_sgpr_workgroup_id_x 1
		.amdhsa_system_sgpr_workgroup_id_y 0
		.amdhsa_system_sgpr_workgroup_id_z 0
		.amdhsa_system_sgpr_workgroup_info 0
		.amdhsa_system_vgpr_workitem_id 0
		.amdhsa_next_free_vgpr 29
		.amdhsa_next_free_sgpr 61
		.amdhsa_reserve_vcc 1
		.amdhsa_reserve_flat_scratch 0
		.amdhsa_float_round_mode_32 0
		.amdhsa_float_round_mode_16_64 0
		.amdhsa_float_denorm_mode_32 3
		.amdhsa_float_denorm_mode_16_64 3
		.amdhsa_dx10_clamp 1
		.amdhsa_ieee_mode 1
		.amdhsa_fp16_overflow 0
		.amdhsa_exception_fp_ieee_invalid_op 0
		.amdhsa_exception_fp_denorm_src 0
		.amdhsa_exception_fp_ieee_div_zero 0
		.amdhsa_exception_fp_ieee_overflow 0
		.amdhsa_exception_fp_ieee_underflow 0
		.amdhsa_exception_fp_ieee_inexact 0
		.amdhsa_exception_int_div_zero 0
	.end_amdhsa_kernel
	.section	.text._Z19reduce_array_kernelILj1024ELj1ELN6hipcub20BlockReduceAlgorithmE1EfEvPT2_S3_,"axG",@progbits,_Z19reduce_array_kernelILj1024ELj1ELN6hipcub20BlockReduceAlgorithmE1EfEvPT2_S3_,comdat
.Lfunc_end88:
	.size	_Z19reduce_array_kernelILj1024ELj1ELN6hipcub20BlockReduceAlgorithmE1EfEvPT2_S3_, .Lfunc_end88-_Z19reduce_array_kernelILj1024ELj1ELN6hipcub20BlockReduceAlgorithmE1EfEvPT2_S3_
                                        ; -- End function
	.set _Z19reduce_array_kernelILj1024ELj1ELN6hipcub20BlockReduceAlgorithmE1EfEvPT2_S3_.num_vgpr, 20
	.set _Z19reduce_array_kernelILj1024ELj1ELN6hipcub20BlockReduceAlgorithmE1EfEvPT2_S3_.num_agpr, 0
	.set _Z19reduce_array_kernelILj1024ELj1ELN6hipcub20BlockReduceAlgorithmE1EfEvPT2_S3_.numbered_sgpr, 8
	.set _Z19reduce_array_kernelILj1024ELj1ELN6hipcub20BlockReduceAlgorithmE1EfEvPT2_S3_.num_named_barrier, 0
	.set _Z19reduce_array_kernelILj1024ELj1ELN6hipcub20BlockReduceAlgorithmE1EfEvPT2_S3_.private_seg_size, 0
	.set _Z19reduce_array_kernelILj1024ELj1ELN6hipcub20BlockReduceAlgorithmE1EfEvPT2_S3_.uses_vcc, 1
	.set _Z19reduce_array_kernelILj1024ELj1ELN6hipcub20BlockReduceAlgorithmE1EfEvPT2_S3_.uses_flat_scratch, 0
	.set _Z19reduce_array_kernelILj1024ELj1ELN6hipcub20BlockReduceAlgorithmE1EfEvPT2_S3_.has_dyn_sized_stack, 0
	.set _Z19reduce_array_kernelILj1024ELj1ELN6hipcub20BlockReduceAlgorithmE1EfEvPT2_S3_.has_recursion, 0
	.set _Z19reduce_array_kernelILj1024ELj1ELN6hipcub20BlockReduceAlgorithmE1EfEvPT2_S3_.has_indirect_call, 0
	.section	.AMDGPU.csdata,"",@progbits
; Kernel info:
; codeLenInByte = 368
; TotalNumSgprs: 12
; NumVgprs: 20
; ScratchSize: 0
; MemoryBound: 0
; FloatMode: 240
; IeeeMode: 1
; LDSByteSize: 4096 bytes/workgroup (compile time only)
; SGPRBlocks: 8
; VGPRBlocks: 7
; NumSGPRsForWavesPerEU: 65
; NumVGPRsForWavesPerEU: 29
; Occupancy: 8
; WaveLimiterHint : 0
; COMPUTE_PGM_RSRC2:SCRATCH_EN: 0
; COMPUTE_PGM_RSRC2:USER_SGPR: 6
; COMPUTE_PGM_RSRC2:TRAP_HANDLER: 0
; COMPUTE_PGM_RSRC2:TGID_X_EN: 1
; COMPUTE_PGM_RSRC2:TGID_Y_EN: 0
; COMPUTE_PGM_RSRC2:TGID_Z_EN: 0
; COMPUTE_PGM_RSRC2:TIDIG_COMP_CNT: 0
	.section	.text._Z19reduce_array_kernelILj512ELj4ELN6hipcub20BlockReduceAlgorithmE1EjEvPT2_S3_,"axG",@progbits,_Z19reduce_array_kernelILj512ELj4ELN6hipcub20BlockReduceAlgorithmE1EjEvPT2_S3_,comdat
	.protected	_Z19reduce_array_kernelILj512ELj4ELN6hipcub20BlockReduceAlgorithmE1EjEvPT2_S3_ ; -- Begin function _Z19reduce_array_kernelILj512ELj4ELN6hipcub20BlockReduceAlgorithmE1EjEvPT2_S3_
	.globl	_Z19reduce_array_kernelILj512ELj4ELN6hipcub20BlockReduceAlgorithmE1EjEvPT2_S3_
	.p2align	8
	.type	_Z19reduce_array_kernelILj512ELj4ELN6hipcub20BlockReduceAlgorithmE1EjEvPT2_S3_,@function
_Z19reduce_array_kernelILj512ELj4ELN6hipcub20BlockReduceAlgorithmE1EjEvPT2_S3_: ; @_Z19reduce_array_kernelILj512ELj4ELN6hipcub20BlockReduceAlgorithmE1EjEvPT2_S3_
; %bb.0:
	s_load_dwordx4 s[0:3], s[4:5], 0x0
	v_lshlrev_b32_e32 v7, 2, v0
	v_lshl_or_b32 v1, s6, 11, v7
	v_mov_b32_e32 v2, 0
	v_lshlrev_b64 v[3:4], 2, v[1:2]
	s_waitcnt lgkmcnt(0)
	v_mov_b32_e32 v1, s1
	v_add_co_u32_e32 v3, vcc, s0, v3
	v_addc_co_u32_e32 v4, vcc, v1, v4, vcc
	global_load_dwordx4 v[3:6], v[3:4], off
	v_mad_u32_u24 v1, v0, 28, v7
	v_mbcnt_lo_u32_b32 v11, -1, 0
	v_mbcnt_hi_u32_b32 v11, -1, v11
	s_mov_b32 s7, 0
	v_cmp_eq_u32_e32 vcc, 0, v0
	s_waitcnt vmcnt(0)
	v_add_u32_e32 v4, v4, v6
	v_add3_u32 v3, v3, v5, v4
	ds_write_b32 v7, v3
	s_waitcnt lgkmcnt(0)
	s_barrier
	ds_read2_b64 v[3:6], v1 offset1:1
	ds_read2_b64 v[7:10], v1 offset0:2 offset1:3
	v_bfrev_b32_e32 v1, 0.5
	v_lshl_or_b32 v1, v11, 2, v1
	s_waitcnt lgkmcnt(1)
	v_add_u32_e32 v3, v4, v3
	v_add3_u32 v3, v3, v5, v6
	s_waitcnt lgkmcnt(0)
	v_add3_u32 v3, v3, v7, v8
	v_add3_u32 v3, v3, v9, v10
	s_nop 1
	v_mov_b32_dpp v4, v3 quad_perm:[1,0,3,2] row_mask:0xf bank_mask:0xf
	v_add_u32_e32 v3, v4, v3
	s_nop 1
	v_mov_b32_dpp v4, v3 quad_perm:[2,3,0,1] row_mask:0xf bank_mask:0xf
	v_add_u32_e32 v3, v3, v4
	s_nop 1
	v_mov_b32_dpp v4, v3 row_ror:4 row_mask:0xf bank_mask:0xf
	v_add_u32_e32 v3, v3, v4
	s_nop 1
	v_mov_b32_dpp v4, v3 row_ror:8 row_mask:0xf bank_mask:0xf
	v_add_u32_e32 v3, v3, v4
	s_nop 1
	v_mov_b32_dpp v4, v3 row_bcast:15 row_mask:0xf bank_mask:0xf
	v_add_u32_e32 v3, v3, v4
	s_nop 1
	v_mov_b32_dpp v4, v3 row_bcast:31 row_mask:0xf bank_mask:0xf
	v_add_u32_e32 v3, v3, v4
	ds_bpermute_b32 v1, v1, v3
	s_and_saveexec_b64 s[0:1], vcc
	s_cbranch_execz .LBB89_2
; %bb.1:
	s_lshl_b64 s[0:1], s[6:7], 2
	s_add_u32 s0, s2, s0
	s_addc_u32 s1, s3, s1
	s_waitcnt lgkmcnt(0)
	global_store_dword v2, v1, s[0:1]
.LBB89_2:
	s_endpgm
	.section	.rodata,"a",@progbits
	.p2align	6, 0x0
	.amdhsa_kernel _Z19reduce_array_kernelILj512ELj4ELN6hipcub20BlockReduceAlgorithmE1EjEvPT2_S3_
		.amdhsa_group_segment_fixed_size 2048
		.amdhsa_private_segment_fixed_size 0
		.amdhsa_kernarg_size 16
		.amdhsa_user_sgpr_count 6
		.amdhsa_user_sgpr_private_segment_buffer 1
		.amdhsa_user_sgpr_dispatch_ptr 0
		.amdhsa_user_sgpr_queue_ptr 0
		.amdhsa_user_sgpr_kernarg_segment_ptr 1
		.amdhsa_user_sgpr_dispatch_id 0
		.amdhsa_user_sgpr_flat_scratch_init 0
		.amdhsa_user_sgpr_private_segment_size 0
		.amdhsa_uses_dynamic_stack 0
		.amdhsa_system_sgpr_private_segment_wavefront_offset 0
		.amdhsa_system_sgpr_workgroup_id_x 1
		.amdhsa_system_sgpr_workgroup_id_y 0
		.amdhsa_system_sgpr_workgroup_id_z 0
		.amdhsa_system_sgpr_workgroup_info 0
		.amdhsa_system_vgpr_workitem_id 0
		.amdhsa_next_free_vgpr 12
		.amdhsa_next_free_sgpr 8
		.amdhsa_reserve_vcc 1
		.amdhsa_reserve_flat_scratch 0
		.amdhsa_float_round_mode_32 0
		.amdhsa_float_round_mode_16_64 0
		.amdhsa_float_denorm_mode_32 3
		.amdhsa_float_denorm_mode_16_64 3
		.amdhsa_dx10_clamp 1
		.amdhsa_ieee_mode 1
		.amdhsa_fp16_overflow 0
		.amdhsa_exception_fp_ieee_invalid_op 0
		.amdhsa_exception_fp_denorm_src 0
		.amdhsa_exception_fp_ieee_div_zero 0
		.amdhsa_exception_fp_ieee_overflow 0
		.amdhsa_exception_fp_ieee_underflow 0
		.amdhsa_exception_fp_ieee_inexact 0
		.amdhsa_exception_int_div_zero 0
	.end_amdhsa_kernel
	.section	.text._Z19reduce_array_kernelILj512ELj4ELN6hipcub20BlockReduceAlgorithmE1EjEvPT2_S3_,"axG",@progbits,_Z19reduce_array_kernelILj512ELj4ELN6hipcub20BlockReduceAlgorithmE1EjEvPT2_S3_,comdat
.Lfunc_end89:
	.size	_Z19reduce_array_kernelILj512ELj4ELN6hipcub20BlockReduceAlgorithmE1EjEvPT2_S3_, .Lfunc_end89-_Z19reduce_array_kernelILj512ELj4ELN6hipcub20BlockReduceAlgorithmE1EjEvPT2_S3_
                                        ; -- End function
	.set _Z19reduce_array_kernelILj512ELj4ELN6hipcub20BlockReduceAlgorithmE1EjEvPT2_S3_.num_vgpr, 12
	.set _Z19reduce_array_kernelILj512ELj4ELN6hipcub20BlockReduceAlgorithmE1EjEvPT2_S3_.num_agpr, 0
	.set _Z19reduce_array_kernelILj512ELj4ELN6hipcub20BlockReduceAlgorithmE1EjEvPT2_S3_.numbered_sgpr, 8
	.set _Z19reduce_array_kernelILj512ELj4ELN6hipcub20BlockReduceAlgorithmE1EjEvPT2_S3_.num_named_barrier, 0
	.set _Z19reduce_array_kernelILj512ELj4ELN6hipcub20BlockReduceAlgorithmE1EjEvPT2_S3_.private_seg_size, 0
	.set _Z19reduce_array_kernelILj512ELj4ELN6hipcub20BlockReduceAlgorithmE1EjEvPT2_S3_.uses_vcc, 1
	.set _Z19reduce_array_kernelILj512ELj4ELN6hipcub20BlockReduceAlgorithmE1EjEvPT2_S3_.uses_flat_scratch, 0
	.set _Z19reduce_array_kernelILj512ELj4ELN6hipcub20BlockReduceAlgorithmE1EjEvPT2_S3_.has_dyn_sized_stack, 0
	.set _Z19reduce_array_kernelILj512ELj4ELN6hipcub20BlockReduceAlgorithmE1EjEvPT2_S3_.has_recursion, 0
	.set _Z19reduce_array_kernelILj512ELj4ELN6hipcub20BlockReduceAlgorithmE1EjEvPT2_S3_.has_indirect_call, 0
	.section	.AMDGPU.csdata,"",@progbits
; Kernel info:
; codeLenInByte = 324
; TotalNumSgprs: 12
; NumVgprs: 12
; ScratchSize: 0
; MemoryBound: 0
; FloatMode: 240
; IeeeMode: 1
; LDSByteSize: 2048 bytes/workgroup (compile time only)
; SGPRBlocks: 1
; VGPRBlocks: 2
; NumSGPRsForWavesPerEU: 12
; NumVGPRsForWavesPerEU: 12
; Occupancy: 10
; WaveLimiterHint : 0
; COMPUTE_PGM_RSRC2:SCRATCH_EN: 0
; COMPUTE_PGM_RSRC2:USER_SGPR: 6
; COMPUTE_PGM_RSRC2:TRAP_HANDLER: 0
; COMPUTE_PGM_RSRC2:TGID_X_EN: 1
; COMPUTE_PGM_RSRC2:TGID_Y_EN: 0
; COMPUTE_PGM_RSRC2:TGID_Z_EN: 0
; COMPUTE_PGM_RSRC2:TIDIG_COMP_CNT: 0
	.section	.text._Z19reduce_array_kernelILj256ELj3ELN6hipcub20BlockReduceAlgorithmE1EiEvPT2_S3_,"axG",@progbits,_Z19reduce_array_kernelILj256ELj3ELN6hipcub20BlockReduceAlgorithmE1EiEvPT2_S3_,comdat
	.protected	_Z19reduce_array_kernelILj256ELj3ELN6hipcub20BlockReduceAlgorithmE1EiEvPT2_S3_ ; -- Begin function _Z19reduce_array_kernelILj256ELj3ELN6hipcub20BlockReduceAlgorithmE1EiEvPT2_S3_
	.globl	_Z19reduce_array_kernelILj256ELj3ELN6hipcub20BlockReduceAlgorithmE1EiEvPT2_S3_
	.p2align	8
	.type	_Z19reduce_array_kernelILj256ELj3ELN6hipcub20BlockReduceAlgorithmE1EiEvPT2_S3_,@function
_Z19reduce_array_kernelILj256ELj3ELN6hipcub20BlockReduceAlgorithmE1EiEvPT2_S3_: ; @_Z19reduce_array_kernelILj256ELj3ELN6hipcub20BlockReduceAlgorithmE1EiEvPT2_S3_
; %bb.0:
	s_load_dwordx4 s[0:3], s[4:5], 0x0
	v_lshl_or_b32 v1, s6, 8, v0
	v_lshl_add_u32 v1, v1, 1, v1
	v_mov_b32_e32 v2, 0
	v_lshlrev_b64 v[3:4], 2, v[1:2]
	s_waitcnt lgkmcnt(0)
	v_mov_b32_e32 v5, s1
	v_add_co_u32_e32 v3, vcc, s0, v3
	v_addc_co_u32_e32 v4, vcc, v5, v4, vcc
	v_add_u32_e32 v5, 1, v1
	v_mov_b32_e32 v6, v2
	v_lshlrev_b64 v[5:6], 2, v[5:6]
	v_mov_b32_e32 v7, s1
	v_add_co_u32_e32 v5, vcc, s0, v5
	v_add_u32_e32 v1, 2, v1
	v_addc_co_u32_e32 v6, vcc, v7, v6, vcc
	v_lshlrev_b64 v[7:8], 2, v[1:2]
	v_mov_b32_e32 v1, s1
	v_add_co_u32_e32 v7, vcc, s0, v7
	v_addc_co_u32_e32 v8, vcc, v1, v8, vcc
	global_load_dword v1, v[3:4], off
	global_load_dword v9, v[5:6], off
	;; [unrolled: 1-line block ×3, first 2 shown]
	v_lshlrev_b32_e32 v3, 2, v0
	v_mad_u32_u24 v4, v0, 12, v3
	v_bfrev_b32_e32 v7, 0.5
	s_mov_b32 s7, 0
	v_cmp_eq_u32_e32 vcc, 0, v0
	s_waitcnt vmcnt(0)
	v_add3_u32 v1, v9, v1, v10
	ds_write_b32 v3, v1
	s_waitcnt lgkmcnt(0)
	s_barrier
	ds_read2_b64 v[3:6], v4 offset1:1
	v_mbcnt_lo_u32_b32 v1, -1, 0
	v_mbcnt_hi_u32_b32 v1, -1, v1
	v_lshl_or_b32 v1, v1, 2, v7
	s_waitcnt lgkmcnt(0)
	v_add_u32_e32 v3, v4, v3
	v_add3_u32 v3, v3, v5, v6
	s_nop 1
	v_mov_b32_dpp v4, v3 quad_perm:[1,0,3,2] row_mask:0xf bank_mask:0xf
	v_add_u32_e32 v3, v4, v3
	s_nop 1
	v_mov_b32_dpp v4, v3 quad_perm:[2,3,0,1] row_mask:0xf bank_mask:0xf
	v_add_u32_e32 v3, v3, v4
	s_nop 1
	v_mov_b32_dpp v4, v3 row_ror:4 row_mask:0xf bank_mask:0xf
	v_add_u32_e32 v3, v3, v4
	s_nop 1
	v_mov_b32_dpp v4, v3 row_ror:8 row_mask:0xf bank_mask:0xf
	v_add_u32_e32 v3, v3, v4
	s_nop 1
	v_mov_b32_dpp v4, v3 row_bcast:15 row_mask:0xf bank_mask:0xf
	v_add_u32_e32 v3, v3, v4
	s_nop 1
	v_mov_b32_dpp v4, v3 row_bcast:31 row_mask:0xf bank_mask:0xf
	v_add_u32_e32 v3, v3, v4
	ds_bpermute_b32 v1, v1, v3
	s_and_saveexec_b64 s[0:1], vcc
	s_cbranch_execz .LBB90_2
; %bb.1:
	s_lshl_b64 s[0:1], s[6:7], 2
	s_add_u32 s0, s2, s0
	s_addc_u32 s1, s3, s1
	s_waitcnt lgkmcnt(0)
	global_store_dword v2, v1, s[0:1]
.LBB90_2:
	s_endpgm
	.section	.rodata,"a",@progbits
	.p2align	6, 0x0
	.amdhsa_kernel _Z19reduce_array_kernelILj256ELj3ELN6hipcub20BlockReduceAlgorithmE1EiEvPT2_S3_
		.amdhsa_group_segment_fixed_size 1024
		.amdhsa_private_segment_fixed_size 0
		.amdhsa_kernarg_size 16
		.amdhsa_user_sgpr_count 6
		.amdhsa_user_sgpr_private_segment_buffer 1
		.amdhsa_user_sgpr_dispatch_ptr 0
		.amdhsa_user_sgpr_queue_ptr 0
		.amdhsa_user_sgpr_kernarg_segment_ptr 1
		.amdhsa_user_sgpr_dispatch_id 0
		.amdhsa_user_sgpr_flat_scratch_init 0
		.amdhsa_user_sgpr_private_segment_size 0
		.amdhsa_uses_dynamic_stack 0
		.amdhsa_system_sgpr_private_segment_wavefront_offset 0
		.amdhsa_system_sgpr_workgroup_id_x 1
		.amdhsa_system_sgpr_workgroup_id_y 0
		.amdhsa_system_sgpr_workgroup_id_z 0
		.amdhsa_system_sgpr_workgroup_info 0
		.amdhsa_system_vgpr_workitem_id 0
		.amdhsa_next_free_vgpr 11
		.amdhsa_next_free_sgpr 8
		.amdhsa_reserve_vcc 1
		.amdhsa_reserve_flat_scratch 0
		.amdhsa_float_round_mode_32 0
		.amdhsa_float_round_mode_16_64 0
		.amdhsa_float_denorm_mode_32 3
		.amdhsa_float_denorm_mode_16_64 3
		.amdhsa_dx10_clamp 1
		.amdhsa_ieee_mode 1
		.amdhsa_fp16_overflow 0
		.amdhsa_exception_fp_ieee_invalid_op 0
		.amdhsa_exception_fp_denorm_src 0
		.amdhsa_exception_fp_ieee_div_zero 0
		.amdhsa_exception_fp_ieee_overflow 0
		.amdhsa_exception_fp_ieee_underflow 0
		.amdhsa_exception_fp_ieee_inexact 0
		.amdhsa_exception_int_div_zero 0
	.end_amdhsa_kernel
	.section	.text._Z19reduce_array_kernelILj256ELj3ELN6hipcub20BlockReduceAlgorithmE1EiEvPT2_S3_,"axG",@progbits,_Z19reduce_array_kernelILj256ELj3ELN6hipcub20BlockReduceAlgorithmE1EiEvPT2_S3_,comdat
.Lfunc_end90:
	.size	_Z19reduce_array_kernelILj256ELj3ELN6hipcub20BlockReduceAlgorithmE1EiEvPT2_S3_, .Lfunc_end90-_Z19reduce_array_kernelILj256ELj3ELN6hipcub20BlockReduceAlgorithmE1EiEvPT2_S3_
                                        ; -- End function
	.set _Z19reduce_array_kernelILj256ELj3ELN6hipcub20BlockReduceAlgorithmE1EiEvPT2_S3_.num_vgpr, 11
	.set _Z19reduce_array_kernelILj256ELj3ELN6hipcub20BlockReduceAlgorithmE1EiEvPT2_S3_.num_agpr, 0
	.set _Z19reduce_array_kernelILj256ELj3ELN6hipcub20BlockReduceAlgorithmE1EiEvPT2_S3_.numbered_sgpr, 8
	.set _Z19reduce_array_kernelILj256ELj3ELN6hipcub20BlockReduceAlgorithmE1EiEvPT2_S3_.num_named_barrier, 0
	.set _Z19reduce_array_kernelILj256ELj3ELN6hipcub20BlockReduceAlgorithmE1EiEvPT2_S3_.private_seg_size, 0
	.set _Z19reduce_array_kernelILj256ELj3ELN6hipcub20BlockReduceAlgorithmE1EiEvPT2_S3_.uses_vcc, 1
	.set _Z19reduce_array_kernelILj256ELj3ELN6hipcub20BlockReduceAlgorithmE1EiEvPT2_S3_.uses_flat_scratch, 0
	.set _Z19reduce_array_kernelILj256ELj3ELN6hipcub20BlockReduceAlgorithmE1EiEvPT2_S3_.has_dyn_sized_stack, 0
	.set _Z19reduce_array_kernelILj256ELj3ELN6hipcub20BlockReduceAlgorithmE1EiEvPT2_S3_.has_recursion, 0
	.set _Z19reduce_array_kernelILj256ELj3ELN6hipcub20BlockReduceAlgorithmE1EiEvPT2_S3_.has_indirect_call, 0
	.section	.AMDGPU.csdata,"",@progbits
; Kernel info:
; codeLenInByte = 368
; TotalNumSgprs: 12
; NumVgprs: 11
; ScratchSize: 0
; MemoryBound: 0
; FloatMode: 240
; IeeeMode: 1
; LDSByteSize: 1024 bytes/workgroup (compile time only)
; SGPRBlocks: 1
; VGPRBlocks: 2
; NumSGPRsForWavesPerEU: 12
; NumVGPRsForWavesPerEU: 11
; Occupancy: 10
; WaveLimiterHint : 0
; COMPUTE_PGM_RSRC2:SCRATCH_EN: 0
; COMPUTE_PGM_RSRC2:USER_SGPR: 6
; COMPUTE_PGM_RSRC2:TRAP_HANDLER: 0
; COMPUTE_PGM_RSRC2:TGID_X_EN: 1
; COMPUTE_PGM_RSRC2:TGID_Y_EN: 0
; COMPUTE_PGM_RSRC2:TGID_Z_EN: 0
; COMPUTE_PGM_RSRC2:TIDIG_COMP_CNT: 0
	.section	.text._Z19reduce_array_kernelILj32ELj2ELN6hipcub20BlockReduceAlgorithmE1EfEvPT2_S3_,"axG",@progbits,_Z19reduce_array_kernelILj32ELj2ELN6hipcub20BlockReduceAlgorithmE1EfEvPT2_S3_,comdat
	.protected	_Z19reduce_array_kernelILj32ELj2ELN6hipcub20BlockReduceAlgorithmE1EfEvPT2_S3_ ; -- Begin function _Z19reduce_array_kernelILj32ELj2ELN6hipcub20BlockReduceAlgorithmE1EfEvPT2_S3_
	.globl	_Z19reduce_array_kernelILj32ELj2ELN6hipcub20BlockReduceAlgorithmE1EfEvPT2_S3_
	.p2align	8
	.type	_Z19reduce_array_kernelILj32ELj2ELN6hipcub20BlockReduceAlgorithmE1EfEvPT2_S3_,@function
_Z19reduce_array_kernelILj32ELj2ELN6hipcub20BlockReduceAlgorithmE1EfEvPT2_S3_: ; @_Z19reduce_array_kernelILj32ELj2ELN6hipcub20BlockReduceAlgorithmE1EfEvPT2_S3_
; %bb.0:
	s_load_dwordx4 s[0:3], s[4:5], 0x0
	v_lshlrev_b32_e32 v1, 1, v0
	v_lshl_or_b32 v1, s6, 6, v1
	v_mov_b32_e32 v2, 0
	v_lshlrev_b64 v[3:4], 2, v[1:2]
	s_waitcnt lgkmcnt(0)
	v_mov_b32_e32 v1, s1
	v_add_co_u32_e32 v3, vcc, s0, v3
	v_addc_co_u32_e32 v4, vcc, v1, v4, vcc
	global_load_dwordx2 v[3:4], v[3:4], off
	v_mbcnt_lo_u32_b32 v1, -1, 0
	v_lshlrev_b32_e32 v5, 2, v0
	v_mbcnt_hi_u32_b32 v6, -1, v1
	v_and_b32_e32 v1, 31, v6
	v_cmp_ne_u32_e32 vcc, 31, v1
	s_mov_b32 s7, 0
	s_waitcnt vmcnt(0)
	v_add_f32_e32 v3, v3, v4
	ds_write_b32 v5, v3
	s_waitcnt lgkmcnt(0)
	; wave barrier
	ds_read_b32 v3, v5
	v_addc_co_u32_e32 v4, vcc, 0, v6, vcc
	v_lshlrev_b32_e32 v4, 2, v4
	v_cmp_gt_u32_e32 vcc, 30, v1
	s_waitcnt lgkmcnt(0)
	ds_bpermute_b32 v4, v4, v3
	v_cndmask_b32_e64 v5, 0, 2, vcc
	v_add_lshl_u32 v5, v5, v6, 2
	v_cmp_gt_u32_e32 vcc, 28, v1
	s_waitcnt lgkmcnt(0)
	v_add_f32_e32 v3, v3, v4
	ds_bpermute_b32 v4, v5, v3
	v_cndmask_b32_e64 v5, 0, 4, vcc
	v_add_lshl_u32 v5, v5, v6, 2
	v_cmp_gt_u32_e32 vcc, 24, v1
	v_cndmask_b32_e64 v1, 0, 8, vcc
	s_waitcnt lgkmcnt(0)
	v_add_f32_e32 v3, v3, v4
	ds_bpermute_b32 v4, v5, v3
	v_add_lshl_u32 v1, v1, v6, 2
	v_cmp_eq_u32_e32 vcc, 0, v0
	s_waitcnt lgkmcnt(0)
	v_add_f32_e32 v3, v3, v4
	ds_bpermute_b32 v1, v1, v3
	s_waitcnt lgkmcnt(0)
	v_add_f32_e32 v1, v3, v1
	v_lshl_or_b32 v3, v6, 2, 64
	ds_bpermute_b32 v3, v3, v1
	s_and_saveexec_b64 s[0:1], vcc
	s_cbranch_execz .LBB91_2
; %bb.1:
	s_lshl_b64 s[0:1], s[6:7], 2
	s_add_u32 s0, s2, s0
	s_addc_u32 s1, s3, s1
	s_waitcnt lgkmcnt(0)
	v_add_f32_e32 v0, v1, v3
	global_store_dword v2, v0, s[0:1]
.LBB91_2:
	s_endpgm
	.section	.rodata,"a",@progbits
	.p2align	6, 0x0
	.amdhsa_kernel _Z19reduce_array_kernelILj32ELj2ELN6hipcub20BlockReduceAlgorithmE1EfEvPT2_S3_
		.amdhsa_group_segment_fixed_size 128
		.amdhsa_private_segment_fixed_size 0
		.amdhsa_kernarg_size 16
		.amdhsa_user_sgpr_count 6
		.amdhsa_user_sgpr_private_segment_buffer 1
		.amdhsa_user_sgpr_dispatch_ptr 0
		.amdhsa_user_sgpr_queue_ptr 0
		.amdhsa_user_sgpr_kernarg_segment_ptr 1
		.amdhsa_user_sgpr_dispatch_id 0
		.amdhsa_user_sgpr_flat_scratch_init 0
		.amdhsa_user_sgpr_private_segment_size 0
		.amdhsa_uses_dynamic_stack 0
		.amdhsa_system_sgpr_private_segment_wavefront_offset 0
		.amdhsa_system_sgpr_workgroup_id_x 1
		.amdhsa_system_sgpr_workgroup_id_y 0
		.amdhsa_system_sgpr_workgroup_id_z 0
		.amdhsa_system_sgpr_workgroup_info 0
		.amdhsa_system_vgpr_workitem_id 0
		.amdhsa_next_free_vgpr 7
		.amdhsa_next_free_sgpr 8
		.amdhsa_reserve_vcc 1
		.amdhsa_reserve_flat_scratch 0
		.amdhsa_float_round_mode_32 0
		.amdhsa_float_round_mode_16_64 0
		.amdhsa_float_denorm_mode_32 3
		.amdhsa_float_denorm_mode_16_64 3
		.amdhsa_dx10_clamp 1
		.amdhsa_ieee_mode 1
		.amdhsa_fp16_overflow 0
		.amdhsa_exception_fp_ieee_invalid_op 0
		.amdhsa_exception_fp_denorm_src 0
		.amdhsa_exception_fp_ieee_div_zero 0
		.amdhsa_exception_fp_ieee_overflow 0
		.amdhsa_exception_fp_ieee_underflow 0
		.amdhsa_exception_fp_ieee_inexact 0
		.amdhsa_exception_int_div_zero 0
	.end_amdhsa_kernel
	.section	.text._Z19reduce_array_kernelILj32ELj2ELN6hipcub20BlockReduceAlgorithmE1EfEvPT2_S3_,"axG",@progbits,_Z19reduce_array_kernelILj32ELj2ELN6hipcub20BlockReduceAlgorithmE1EfEvPT2_S3_,comdat
.Lfunc_end91:
	.size	_Z19reduce_array_kernelILj32ELj2ELN6hipcub20BlockReduceAlgorithmE1EfEvPT2_S3_, .Lfunc_end91-_Z19reduce_array_kernelILj32ELj2ELN6hipcub20BlockReduceAlgorithmE1EfEvPT2_S3_
                                        ; -- End function
	.set _Z19reduce_array_kernelILj32ELj2ELN6hipcub20BlockReduceAlgorithmE1EfEvPT2_S3_.num_vgpr, 7
	.set _Z19reduce_array_kernelILj32ELj2ELN6hipcub20BlockReduceAlgorithmE1EfEvPT2_S3_.num_agpr, 0
	.set _Z19reduce_array_kernelILj32ELj2ELN6hipcub20BlockReduceAlgorithmE1EfEvPT2_S3_.numbered_sgpr, 8
	.set _Z19reduce_array_kernelILj32ELj2ELN6hipcub20BlockReduceAlgorithmE1EfEvPT2_S3_.num_named_barrier, 0
	.set _Z19reduce_array_kernelILj32ELj2ELN6hipcub20BlockReduceAlgorithmE1EfEvPT2_S3_.private_seg_size, 0
	.set _Z19reduce_array_kernelILj32ELj2ELN6hipcub20BlockReduceAlgorithmE1EfEvPT2_S3_.uses_vcc, 1
	.set _Z19reduce_array_kernelILj32ELj2ELN6hipcub20BlockReduceAlgorithmE1EfEvPT2_S3_.uses_flat_scratch, 0
	.set _Z19reduce_array_kernelILj32ELj2ELN6hipcub20BlockReduceAlgorithmE1EfEvPT2_S3_.has_dyn_sized_stack, 0
	.set _Z19reduce_array_kernelILj32ELj2ELN6hipcub20BlockReduceAlgorithmE1EfEvPT2_S3_.has_recursion, 0
	.set _Z19reduce_array_kernelILj32ELj2ELN6hipcub20BlockReduceAlgorithmE1EfEvPT2_S3_.has_indirect_call, 0
	.section	.AMDGPU.csdata,"",@progbits
; Kernel info:
; codeLenInByte = 312
; TotalNumSgprs: 12
; NumVgprs: 7
; ScratchSize: 0
; MemoryBound: 0
; FloatMode: 240
; IeeeMode: 1
; LDSByteSize: 128 bytes/workgroup (compile time only)
; SGPRBlocks: 1
; VGPRBlocks: 1
; NumSGPRsForWavesPerEU: 12
; NumVGPRsForWavesPerEU: 7
; Occupancy: 10
; WaveLimiterHint : 0
; COMPUTE_PGM_RSRC2:SCRATCH_EN: 0
; COMPUTE_PGM_RSRC2:USER_SGPR: 6
; COMPUTE_PGM_RSRC2:TRAP_HANDLER: 0
; COMPUTE_PGM_RSRC2:TGID_X_EN: 1
; COMPUTE_PGM_RSRC2:TGID_Y_EN: 0
; COMPUTE_PGM_RSRC2:TGID_Z_EN: 0
; COMPUTE_PGM_RSRC2:TIDIG_COMP_CNT: 0
	.section	.text._Z19reduce_array_kernelILj6ELj32ELN6hipcub20BlockReduceAlgorithmE1EfEvPT2_S3_,"axG",@progbits,_Z19reduce_array_kernelILj6ELj32ELN6hipcub20BlockReduceAlgorithmE1EfEvPT2_S3_,comdat
	.protected	_Z19reduce_array_kernelILj6ELj32ELN6hipcub20BlockReduceAlgorithmE1EfEvPT2_S3_ ; -- Begin function _Z19reduce_array_kernelILj6ELj32ELN6hipcub20BlockReduceAlgorithmE1EfEvPT2_S3_
	.globl	_Z19reduce_array_kernelILj6ELj32ELN6hipcub20BlockReduceAlgorithmE1EfEvPT2_S3_
	.p2align	8
	.type	_Z19reduce_array_kernelILj6ELj32ELN6hipcub20BlockReduceAlgorithmE1EfEvPT2_S3_,@function
_Z19reduce_array_kernelILj6ELj32ELN6hipcub20BlockReduceAlgorithmE1EfEvPT2_S3_: ; @_Z19reduce_array_kernelILj6ELj32ELN6hipcub20BlockReduceAlgorithmE1EfEvPT2_S3_
; %bb.0:
	s_load_dwordx4 s[0:3], s[4:5], 0x0
	s_mul_i32 s4, s6, 6
	v_add_lshl_u32 v1, s4, v0, 5
	v_mov_b32_e32 v2, 0
	v_lshlrev_b64 v[3:4], 2, v[1:2]
	s_waitcnt lgkmcnt(0)
	v_mov_b32_e32 v1, s1
	v_add_co_u32_e32 v19, vcc, s0, v3
	v_addc_co_u32_e32 v20, vcc, v1, v4, vcc
	global_load_dwordx4 v[3:6], v[19:20], off
	global_load_dwordx4 v[7:10], v[19:20], off offset:16
	global_load_dwordx4 v[11:14], v[19:20], off offset:32
	s_mov_b32 s7, 0
	s_waitcnt vmcnt(2)
	v_add_f32_e32 v1, v3, v4
	v_add_f32_e32 v1, v5, v1
	v_add_f32_e32 v1, v6, v1
	global_load_dwordx4 v[3:6], v[19:20], off offset:48
	s_waitcnt vmcnt(2)
	v_add_f32_e32 v1, v7, v1
	v_add_f32_e32 v1, v8, v1
	v_add_f32_e32 v1, v9, v1
	v_add_f32_e32 v1, v10, v1
	global_load_dwordx4 v[7:10], v[19:20], off offset:64
	s_waitcnt vmcnt(2)
	v_add_f32_e32 v1, v11, v1
	;; [unrolled: 6-line block ×3, first 2 shown]
	v_add_f32_e32 v1, v4, v1
	v_add_f32_e32 v1, v5, v1
	;; [unrolled: 1-line block ×3, first 2 shown]
	global_load_dwordx4 v[3:6], v[19:20], off offset:96
	global_load_dwordx4 v[15:18], v[19:20], off offset:112
	s_waitcnt vmcnt(3)
	v_add_f32_e32 v1, v7, v1
	v_add_f32_e32 v1, v8, v1
	;; [unrolled: 1-line block ×4, first 2 shown]
	v_mbcnt_lo_u32_b32 v1, -1, 0
	s_waitcnt vmcnt(2)
	v_add_f32_e32 v7, v11, v7
	v_add_f32_e32 v7, v12, v7
	;; [unrolled: 1-line block ×4, first 2 shown]
	v_lshlrev_b32_e32 v8, 2, v0
	v_mbcnt_hi_u32_b32 v9, -1, v1
	v_and_b32_e32 v1, 7, v9
	v_cmp_ne_u32_e32 vcc, 7, v1
	v_cmp_gt_u32_e64 s[0:1], 4, v1
	s_waitcnt vmcnt(1)
	v_add_f32_e32 v3, v3, v7
	v_add_f32_e32 v3, v4, v3
	;; [unrolled: 1-line block ×4, first 2 shown]
	s_waitcnt vmcnt(0)
	v_add_f32_e32 v3, v15, v3
	v_add_f32_e32 v3, v16, v3
	;; [unrolled: 1-line block ×4, first 2 shown]
	ds_write_b32 v8, v3
	s_waitcnt lgkmcnt(0)
	; wave barrier
	ds_read_b32 v3, v8
	v_addc_co_u32_e32 v4, vcc, 0, v9, vcc
	v_lshlrev_b32_e32 v4, 2, v4
	v_cmp_gt_u32_e32 vcc, 6, v1
	s_waitcnt lgkmcnt(0)
	ds_bpermute_b32 v4, v4, v3
	v_cndmask_b32_e64 v5, 0, 2, vcc
	v_cmp_gt_u32_e32 vcc, 5, v1
	v_add_lshl_u32 v5, v5, v9, 2
	s_waitcnt lgkmcnt(0)
	v_add_f32_e32 v4, v3, v4
	v_cndmask_b32_e32 v4, v3, v4, vcc
	ds_bpermute_b32 v5, v5, v4
	s_waitcnt lgkmcnt(0)
	v_add_f32_e32 v5, v4, v5
	v_cndmask_b32_e64 v4, v4, v5, s[0:1]
	v_lshl_or_b32 v5, v9, 2, 16
	ds_bpermute_b32 v5, v5, v4
	v_cmp_eq_u32_e64 s[0:1], 0, v0
	s_and_saveexec_b64 s[4:5], s[0:1]
	s_cbranch_execz .LBB92_2
; %bb.1:
	s_lshl_b64 s[0:1], s[6:7], 2
	s_add_u32 s2, s2, s0
	s_addc_u32 s3, s3, s1
	s_waitcnt lgkmcnt(0)
	v_add_f32_e32 v0, v4, v5
	v_cmp_gt_u32_e64 s[0:1], 2, v1
	v_cndmask_b32_e64 v0, v4, v0, s[0:1]
	v_cndmask_b32_e32 v0, v3, v0, vcc
	global_store_dword v2, v0, s[2:3]
.LBB92_2:
	s_endpgm
	.section	.rodata,"a",@progbits
	.p2align	6, 0x0
	.amdhsa_kernel _Z19reduce_array_kernelILj6ELj32ELN6hipcub20BlockReduceAlgorithmE1EfEvPT2_S3_
		.amdhsa_group_segment_fixed_size 24
		.amdhsa_private_segment_fixed_size 0
		.amdhsa_kernarg_size 16
		.amdhsa_user_sgpr_count 6
		.amdhsa_user_sgpr_private_segment_buffer 1
		.amdhsa_user_sgpr_dispatch_ptr 0
		.amdhsa_user_sgpr_queue_ptr 0
		.amdhsa_user_sgpr_kernarg_segment_ptr 1
		.amdhsa_user_sgpr_dispatch_id 0
		.amdhsa_user_sgpr_flat_scratch_init 0
		.amdhsa_user_sgpr_private_segment_size 0
		.amdhsa_uses_dynamic_stack 0
		.amdhsa_system_sgpr_private_segment_wavefront_offset 0
		.amdhsa_system_sgpr_workgroup_id_x 1
		.amdhsa_system_sgpr_workgroup_id_y 0
		.amdhsa_system_sgpr_workgroup_id_z 0
		.amdhsa_system_sgpr_workgroup_info 0
		.amdhsa_system_vgpr_workitem_id 0
		.amdhsa_next_free_vgpr 21
		.amdhsa_next_free_sgpr 8
		.amdhsa_reserve_vcc 1
		.amdhsa_reserve_flat_scratch 0
		.amdhsa_float_round_mode_32 0
		.amdhsa_float_round_mode_16_64 0
		.amdhsa_float_denorm_mode_32 3
		.amdhsa_float_denorm_mode_16_64 3
		.amdhsa_dx10_clamp 1
		.amdhsa_ieee_mode 1
		.amdhsa_fp16_overflow 0
		.amdhsa_exception_fp_ieee_invalid_op 0
		.amdhsa_exception_fp_denorm_src 0
		.amdhsa_exception_fp_ieee_div_zero 0
		.amdhsa_exception_fp_ieee_overflow 0
		.amdhsa_exception_fp_ieee_underflow 0
		.amdhsa_exception_fp_ieee_inexact 0
		.amdhsa_exception_int_div_zero 0
	.end_amdhsa_kernel
	.section	.text._Z19reduce_array_kernelILj6ELj32ELN6hipcub20BlockReduceAlgorithmE1EfEvPT2_S3_,"axG",@progbits,_Z19reduce_array_kernelILj6ELj32ELN6hipcub20BlockReduceAlgorithmE1EfEvPT2_S3_,comdat
.Lfunc_end92:
	.size	_Z19reduce_array_kernelILj6ELj32ELN6hipcub20BlockReduceAlgorithmE1EfEvPT2_S3_, .Lfunc_end92-_Z19reduce_array_kernelILj6ELj32ELN6hipcub20BlockReduceAlgorithmE1EfEvPT2_S3_
                                        ; -- End function
	.set _Z19reduce_array_kernelILj6ELj32ELN6hipcub20BlockReduceAlgorithmE1EfEvPT2_S3_.num_vgpr, 21
	.set _Z19reduce_array_kernelILj6ELj32ELN6hipcub20BlockReduceAlgorithmE1EfEvPT2_S3_.num_agpr, 0
	.set _Z19reduce_array_kernelILj6ELj32ELN6hipcub20BlockReduceAlgorithmE1EfEvPT2_S3_.numbered_sgpr, 8
	.set _Z19reduce_array_kernelILj6ELj32ELN6hipcub20BlockReduceAlgorithmE1EfEvPT2_S3_.num_named_barrier, 0
	.set _Z19reduce_array_kernelILj6ELj32ELN6hipcub20BlockReduceAlgorithmE1EfEvPT2_S3_.private_seg_size, 0
	.set _Z19reduce_array_kernelILj6ELj32ELN6hipcub20BlockReduceAlgorithmE1EfEvPT2_S3_.uses_vcc, 1
	.set _Z19reduce_array_kernelILj6ELj32ELN6hipcub20BlockReduceAlgorithmE1EfEvPT2_S3_.uses_flat_scratch, 0
	.set _Z19reduce_array_kernelILj6ELj32ELN6hipcub20BlockReduceAlgorithmE1EfEvPT2_S3_.has_dyn_sized_stack, 0
	.set _Z19reduce_array_kernelILj6ELj32ELN6hipcub20BlockReduceAlgorithmE1EfEvPT2_S3_.has_recursion, 0
	.set _Z19reduce_array_kernelILj6ELj32ELN6hipcub20BlockReduceAlgorithmE1EfEvPT2_S3_.has_indirect_call, 0
	.section	.AMDGPU.csdata,"",@progbits
; Kernel info:
; codeLenInByte = 492
; TotalNumSgprs: 12
; NumVgprs: 21
; ScratchSize: 0
; MemoryBound: 0
; FloatMode: 240
; IeeeMode: 1
; LDSByteSize: 24 bytes/workgroup (compile time only)
; SGPRBlocks: 1
; VGPRBlocks: 5
; NumSGPRsForWavesPerEU: 12
; NumVGPRsForWavesPerEU: 21
; Occupancy: 10
; WaveLimiterHint : 0
; COMPUTE_PGM_RSRC2:SCRATCH_EN: 0
; COMPUTE_PGM_RSRC2:USER_SGPR: 6
; COMPUTE_PGM_RSRC2:TRAP_HANDLER: 0
; COMPUTE_PGM_RSRC2:TGID_X_EN: 1
; COMPUTE_PGM_RSRC2:TGID_Y_EN: 0
; COMPUTE_PGM_RSRC2:TGID_Z_EN: 0
; COMPUTE_PGM_RSRC2:TIDIG_COMP_CNT: 0
	.section	.text._Z19reduce_array_kernelILj32ELj4ELN6hipcub20BlockReduceAlgorithmE0E12hip_bfloat16EvPT2_S4_,"axG",@progbits,_Z19reduce_array_kernelILj32ELj4ELN6hipcub20BlockReduceAlgorithmE0E12hip_bfloat16EvPT2_S4_,comdat
	.protected	_Z19reduce_array_kernelILj32ELj4ELN6hipcub20BlockReduceAlgorithmE0E12hip_bfloat16EvPT2_S4_ ; -- Begin function _Z19reduce_array_kernelILj32ELj4ELN6hipcub20BlockReduceAlgorithmE0E12hip_bfloat16EvPT2_S4_
	.globl	_Z19reduce_array_kernelILj32ELj4ELN6hipcub20BlockReduceAlgorithmE0E12hip_bfloat16EvPT2_S4_
	.p2align	8
	.type	_Z19reduce_array_kernelILj32ELj4ELN6hipcub20BlockReduceAlgorithmE0E12hip_bfloat16EvPT2_S4_,@function
_Z19reduce_array_kernelILj32ELj4ELN6hipcub20BlockReduceAlgorithmE0E12hip_bfloat16EvPT2_S4_: ; @_Z19reduce_array_kernelILj32ELj4ELN6hipcub20BlockReduceAlgorithmE0E12hip_bfloat16EvPT2_S4_
; %bb.0:
	s_load_dwordx4 s[0:3], s[4:5], 0x0
	v_lshlrev_b32_e32 v1, 2, v0
	v_lshl_or_b32 v1, s6, 7, v1
	v_mov_b32_e32 v2, 0
	v_lshlrev_b64 v[1:2], 1, v[1:2]
	s_waitcnt lgkmcnt(0)
	v_mov_b32_e32 v3, s1
	v_add_co_u32_e32 v1, vcc, s0, v1
	v_addc_co_u32_e32 v2, vcc, v3, v2, vcc
	global_load_dwordx2 v[1:2], v[1:2], off
	s_mov_b32 s0, 0x7f800000
	s_waitcnt vmcnt(0)
	v_and_b32_e32 v3, 0xffff0000, v1
	v_lshlrev_b32_e32 v1, 16, v1
	v_add_f32_e32 v1, v1, v3
	v_and_b32_e32 v3, 0x7f800000, v1
	v_cmp_ne_u32_e32 vcc, s0, v3
                                        ; implicit-def: $vgpr3
	s_and_saveexec_b64 s[0:1], vcc
	s_xor_b64 s[0:1], exec, s[0:1]
; %bb.1:
	v_bfe_u32 v3, v1, 16, 1
	s_movk_i32 s4, 0x7fff
	v_add3_u32 v3, v1, v3, s4
                                        ; implicit-def: $vgpr1
; %bb.2:
	s_andn2_saveexec_b64 s[0:1], s[0:1]
; %bb.3:
	v_mov_b32_e32 v3, 0
	v_or_b32_e32 v4, 0x10000, v1
	v_cmp_eq_u32_sdwa vcc, v1, v3 src0_sel:WORD_0 src1_sel:DWORD
	v_cndmask_b32_e32 v3, v4, v1, vcc
; %bb.4:
	s_or_b64 exec, exec, s[0:1]
	v_and_b32_e32 v1, 0xffff0000, v3
	v_lshlrev_b32_e32 v3, 16, v2
	v_add_f32_e32 v1, v1, v3
	s_mov_b32 s0, 0x7f800000
	v_and_b32_e32 v3, 0x7f800000, v1
	v_cmp_ne_u32_e32 vcc, s0, v3
                                        ; implicit-def: $vgpr3
	s_and_saveexec_b64 s[0:1], vcc
	s_xor_b64 s[0:1], exec, s[0:1]
; %bb.5:
	v_bfe_u32 v3, v1, 16, 1
	s_movk_i32 s4, 0x7fff
	v_add3_u32 v3, v1, v3, s4
                                        ; implicit-def: $vgpr1
; %bb.6:
	s_andn2_saveexec_b64 s[0:1], s[0:1]
; %bb.7:
	v_mov_b32_e32 v3, 0
	v_or_b32_e32 v4, 0x10000, v1
	v_cmp_eq_u32_sdwa vcc, v1, v3 src0_sel:WORD_0 src1_sel:DWORD
	v_cndmask_b32_e32 v3, v4, v1, vcc
; %bb.8:
	s_or_b64 exec, exec, s[0:1]
	v_and_b32_e32 v1, 0xffff0000, v3
	v_and_b32_e32 v2, 0xffff0000, v2
	v_add_f32_e32 v1, v1, v2
	s_mov_b32 s0, 0x7f800000
	v_and_b32_e32 v2, 0x7f800000, v1
	v_cmp_ne_u32_e32 vcc, s0, v2
                                        ; implicit-def: $vgpr3
	s_and_saveexec_b64 s[0:1], vcc
	s_xor_b64 s[0:1], exec, s[0:1]
; %bb.9:
	v_bfe_u32 v2, v1, 16, 1
	s_movk_i32 s4, 0x7fff
	v_add3_u32 v3, v1, v2, s4
                                        ; implicit-def: $vgpr1
; %bb.10:
	s_andn2_saveexec_b64 s[0:1], s[0:1]
; %bb.11:
	v_mov_b32_e32 v2, 0
	v_or_b32_e32 v3, 0x10000, v1
	v_cmp_eq_u32_sdwa vcc, v1, v2 src0_sel:WORD_0 src1_sel:DWORD
	v_cndmask_b32_e32 v3, v3, v1, vcc
; %bb.12:
	s_or_b64 exec, exec, s[0:1]
	v_mbcnt_lo_u32_b32 v1, -1, 0
	v_mbcnt_hi_u32_b32 v1, -1, v1
	v_and_b32_e32 v2, 31, v1
	v_cmp_ne_u32_e32 vcc, 31, v2
	v_addc_co_u32_e32 v5, vcc, 0, v1, vcc
	v_lshrrev_b32_e32 v4, 16, v3
	v_lshlrev_b32_e32 v5, 2, v5
	ds_bpermute_b32 v4, v5, v4
	v_and_b32_e32 v3, 0xffff0000, v3
	s_mov_b32 s0, 0x7f800000
	s_waitcnt lgkmcnt(0)
	v_lshlrev_b32_e32 v4, 16, v4
	v_add_f32_e32 v3, v3, v4
	v_and_b32_e32 v4, 0x7f800000, v3
	v_cmp_ne_u32_e32 vcc, s0, v4
                                        ; implicit-def: $vgpr4
	s_and_saveexec_b64 s[0:1], vcc
	s_xor_b64 s[0:1], exec, s[0:1]
; %bb.13:
	v_bfe_u32 v4, v3, 16, 1
	s_movk_i32 s4, 0x7fff
	v_add3_u32 v4, v3, v4, s4
                                        ; implicit-def: $vgpr3
; %bb.14:
	s_andn2_saveexec_b64 s[0:1], s[0:1]
; %bb.15:
	v_mov_b32_e32 v4, 0
	v_or_b32_e32 v5, 0x10000, v3
	v_cmp_eq_u32_sdwa vcc, v3, v4 src0_sel:WORD_0 src1_sel:DWORD
	v_cndmask_b32_e32 v4, v5, v3, vcc
; %bb.16:
	s_or_b64 exec, exec, s[0:1]
	v_cmp_gt_u32_e32 vcc, 30, v2
	v_cndmask_b32_e64 v5, 0, 2, vcc
	v_lshrrev_b32_e32 v3, 16, v4
	v_add_lshl_u32 v5, v5, v1, 2
	ds_bpermute_b32 v3, v5, v3
	v_and_b32_e32 v4, 0xffff0000, v4
	s_mov_b32 s0, 0x7f800000
	s_waitcnt lgkmcnt(0)
	v_lshlrev_b32_e32 v3, 16, v3
	v_add_f32_e32 v3, v4, v3
	v_and_b32_e32 v4, 0x7f800000, v3
	v_cmp_ne_u32_e32 vcc, s0, v4
                                        ; implicit-def: $vgpr4
	s_and_saveexec_b64 s[0:1], vcc
	s_xor_b64 s[0:1], exec, s[0:1]
; %bb.17:
	v_bfe_u32 v4, v3, 16, 1
	s_movk_i32 s4, 0x7fff
	v_add3_u32 v4, v3, v4, s4
                                        ; implicit-def: $vgpr3
; %bb.18:
	s_andn2_saveexec_b64 s[0:1], s[0:1]
; %bb.19:
	v_mov_b32_e32 v4, 0
	v_or_b32_e32 v5, 0x10000, v3
	v_cmp_eq_u32_sdwa vcc, v3, v4 src0_sel:WORD_0 src1_sel:DWORD
	v_cndmask_b32_e32 v4, v5, v3, vcc
; %bb.20:
	s_or_b64 exec, exec, s[0:1]
	v_cmp_gt_u32_e32 vcc, 28, v2
	v_cndmask_b32_e64 v5, 0, 4, vcc
	v_lshrrev_b32_e32 v3, 16, v4
	v_add_lshl_u32 v5, v5, v1, 2
	;; [unrolled: 29-line block ×3, first 2 shown]
	ds_bpermute_b32 v2, v2, v3
	v_and_b32_e32 v3, 0xffff0000, v4
	s_mov_b32 s0, 0x7f800000
	s_waitcnt lgkmcnt(0)
	v_lshlrev_b32_e32 v2, 16, v2
	v_add_f32_e32 v2, v3, v2
	v_and_b32_e32 v3, 0x7f800000, v2
	v_cmp_ne_u32_e32 vcc, s0, v3
                                        ; implicit-def: $vgpr3
	s_and_saveexec_b64 s[0:1], vcc
	s_xor_b64 s[0:1], exec, s[0:1]
; %bb.25:
	v_bfe_u32 v3, v2, 16, 1
	s_movk_i32 s4, 0x7fff
	v_add3_u32 v3, v2, v3, s4
                                        ; implicit-def: $vgpr2
; %bb.26:
	s_andn2_saveexec_b64 s[0:1], s[0:1]
; %bb.27:
	v_mov_b32_e32 v3, 0
	v_or_b32_e32 v4, 0x10000, v2
	v_cmp_eq_u32_sdwa vcc, v2, v3 src0_sel:WORD_0 src1_sel:DWORD
	v_cndmask_b32_e32 v3, v4, v2, vcc
; %bb.28:
	s_or_b64 exec, exec, s[0:1]
	v_lshrrev_b32_e32 v2, 16, v3
	v_lshl_or_b32 v1, v1, 2, 64
	ds_bpermute_b32 v1, v1, v2
	v_and_b32_e32 v2, 0xffff0000, v3
	s_mov_b32 s0, 0x7f800000
	s_waitcnt lgkmcnt(0)
	v_lshlrev_b32_e32 v1, 16, v1
	v_add_f32_e32 v2, v2, v1
	v_and_b32_e32 v1, 0x7f800000, v2
	v_cmp_ne_u32_e32 vcc, s0, v1
                                        ; implicit-def: $vgpr1
	s_and_saveexec_b64 s[0:1], vcc
	s_xor_b64 s[0:1], exec, s[0:1]
; %bb.29:
	v_bfe_u32 v1, v2, 16, 1
	s_movk_i32 s4, 0x7fff
	v_add3_u32 v1, v2, v1, s4
                                        ; implicit-def: $vgpr2
; %bb.30:
	s_andn2_saveexec_b64 s[0:1], s[0:1]
; %bb.31:
	v_mov_b32_e32 v1, 0
	v_or_b32_e32 v3, 0x10000, v2
	v_cmp_eq_u32_sdwa vcc, v2, v1 src0_sel:WORD_0 src1_sel:DWORD
	v_cndmask_b32_e32 v1, v3, v2, vcc
; %bb.32:
	s_or_b64 exec, exec, s[0:1]
	s_mov_b32 s7, 0
	v_cmp_eq_u32_e32 vcc, 0, v0
	s_and_saveexec_b64 s[0:1], vcc
	s_cbranch_execz .LBB93_34
; %bb.33:
	s_lshl_b64 s[0:1], s[6:7], 1
	s_add_u32 s0, s2, s0
	s_addc_u32 s1, s3, s1
	v_mov_b32_e32 v0, 0
	global_store_short_d16_hi v0, v1, s[0:1]
.LBB93_34:
	s_endpgm
	.section	.rodata,"a",@progbits
	.p2align	6, 0x0
	.amdhsa_kernel _Z19reduce_array_kernelILj32ELj4ELN6hipcub20BlockReduceAlgorithmE0E12hip_bfloat16EvPT2_S4_
		.amdhsa_group_segment_fixed_size 0
		.amdhsa_private_segment_fixed_size 0
		.amdhsa_kernarg_size 16
		.amdhsa_user_sgpr_count 6
		.amdhsa_user_sgpr_private_segment_buffer 1
		.amdhsa_user_sgpr_dispatch_ptr 0
		.amdhsa_user_sgpr_queue_ptr 0
		.amdhsa_user_sgpr_kernarg_segment_ptr 1
		.amdhsa_user_sgpr_dispatch_id 0
		.amdhsa_user_sgpr_flat_scratch_init 0
		.amdhsa_user_sgpr_private_segment_size 0
		.amdhsa_uses_dynamic_stack 0
		.amdhsa_system_sgpr_private_segment_wavefront_offset 0
		.amdhsa_system_sgpr_workgroup_id_x 1
		.amdhsa_system_sgpr_workgroup_id_y 0
		.amdhsa_system_sgpr_workgroup_id_z 0
		.amdhsa_system_sgpr_workgroup_info 0
		.amdhsa_system_vgpr_workitem_id 0
		.amdhsa_next_free_vgpr 6
		.amdhsa_next_free_sgpr 8
		.amdhsa_reserve_vcc 1
		.amdhsa_reserve_flat_scratch 0
		.amdhsa_float_round_mode_32 0
		.amdhsa_float_round_mode_16_64 0
		.amdhsa_float_denorm_mode_32 3
		.amdhsa_float_denorm_mode_16_64 3
		.amdhsa_dx10_clamp 1
		.amdhsa_ieee_mode 1
		.amdhsa_fp16_overflow 0
		.amdhsa_exception_fp_ieee_invalid_op 0
		.amdhsa_exception_fp_denorm_src 0
		.amdhsa_exception_fp_ieee_div_zero 0
		.amdhsa_exception_fp_ieee_overflow 0
		.amdhsa_exception_fp_ieee_underflow 0
		.amdhsa_exception_fp_ieee_inexact 0
		.amdhsa_exception_int_div_zero 0
	.end_amdhsa_kernel
	.section	.text._Z19reduce_array_kernelILj32ELj4ELN6hipcub20BlockReduceAlgorithmE0E12hip_bfloat16EvPT2_S4_,"axG",@progbits,_Z19reduce_array_kernelILj32ELj4ELN6hipcub20BlockReduceAlgorithmE0E12hip_bfloat16EvPT2_S4_,comdat
.Lfunc_end93:
	.size	_Z19reduce_array_kernelILj32ELj4ELN6hipcub20BlockReduceAlgorithmE0E12hip_bfloat16EvPT2_S4_, .Lfunc_end93-_Z19reduce_array_kernelILj32ELj4ELN6hipcub20BlockReduceAlgorithmE0E12hip_bfloat16EvPT2_S4_
                                        ; -- End function
	.set _Z19reduce_array_kernelILj32ELj4ELN6hipcub20BlockReduceAlgorithmE0E12hip_bfloat16EvPT2_S4_.num_vgpr, 6
	.set _Z19reduce_array_kernelILj32ELj4ELN6hipcub20BlockReduceAlgorithmE0E12hip_bfloat16EvPT2_S4_.num_agpr, 0
	.set _Z19reduce_array_kernelILj32ELj4ELN6hipcub20BlockReduceAlgorithmE0E12hip_bfloat16EvPT2_S4_.numbered_sgpr, 8
	.set _Z19reduce_array_kernelILj32ELj4ELN6hipcub20BlockReduceAlgorithmE0E12hip_bfloat16EvPT2_S4_.num_named_barrier, 0
	.set _Z19reduce_array_kernelILj32ELj4ELN6hipcub20BlockReduceAlgorithmE0E12hip_bfloat16EvPT2_S4_.private_seg_size, 0
	.set _Z19reduce_array_kernelILj32ELj4ELN6hipcub20BlockReduceAlgorithmE0E12hip_bfloat16EvPT2_S4_.uses_vcc, 1
	.set _Z19reduce_array_kernelILj32ELj4ELN6hipcub20BlockReduceAlgorithmE0E12hip_bfloat16EvPT2_S4_.uses_flat_scratch, 0
	.set _Z19reduce_array_kernelILj32ELj4ELN6hipcub20BlockReduceAlgorithmE0E12hip_bfloat16EvPT2_S4_.has_dyn_sized_stack, 0
	.set _Z19reduce_array_kernelILj32ELj4ELN6hipcub20BlockReduceAlgorithmE0E12hip_bfloat16EvPT2_S4_.has_recursion, 0
	.set _Z19reduce_array_kernelILj32ELj4ELN6hipcub20BlockReduceAlgorithmE0E12hip_bfloat16EvPT2_S4_.has_indirect_call, 0
	.section	.AMDGPU.csdata,"",@progbits
; Kernel info:
; codeLenInByte = 1056
; TotalNumSgprs: 12
; NumVgprs: 6
; ScratchSize: 0
; MemoryBound: 0
; FloatMode: 240
; IeeeMode: 1
; LDSByteSize: 0 bytes/workgroup (compile time only)
; SGPRBlocks: 1
; VGPRBlocks: 1
; NumSGPRsForWavesPerEU: 12
; NumVGPRsForWavesPerEU: 6
; Occupancy: 10
; WaveLimiterHint : 0
; COMPUTE_PGM_RSRC2:SCRATCH_EN: 0
; COMPUTE_PGM_RSRC2:USER_SGPR: 6
; COMPUTE_PGM_RSRC2:TRAP_HANDLER: 0
; COMPUTE_PGM_RSRC2:TGID_X_EN: 1
; COMPUTE_PGM_RSRC2:TGID_Y_EN: 0
; COMPUTE_PGM_RSRC2:TGID_Z_EN: 0
; COMPUTE_PGM_RSRC2:TIDIG_COMP_CNT: 0
	.section	.text._Z19reduce_array_kernelILj32ELj4ELN6hipcub20BlockReduceAlgorithmE0E6__halfEvPT2_S4_,"axG",@progbits,_Z19reduce_array_kernelILj32ELj4ELN6hipcub20BlockReduceAlgorithmE0E6__halfEvPT2_S4_,comdat
	.protected	_Z19reduce_array_kernelILj32ELj4ELN6hipcub20BlockReduceAlgorithmE0E6__halfEvPT2_S4_ ; -- Begin function _Z19reduce_array_kernelILj32ELj4ELN6hipcub20BlockReduceAlgorithmE0E6__halfEvPT2_S4_
	.globl	_Z19reduce_array_kernelILj32ELj4ELN6hipcub20BlockReduceAlgorithmE0E6__halfEvPT2_S4_
	.p2align	8
	.type	_Z19reduce_array_kernelILj32ELj4ELN6hipcub20BlockReduceAlgorithmE0E6__halfEvPT2_S4_,@function
_Z19reduce_array_kernelILj32ELj4ELN6hipcub20BlockReduceAlgorithmE0E6__halfEvPT2_S4_: ; @_Z19reduce_array_kernelILj32ELj4ELN6hipcub20BlockReduceAlgorithmE0E6__halfEvPT2_S4_
; %bb.0:
	s_load_dwordx4 s[0:3], s[4:5], 0x0
	v_lshlrev_b32_e32 v1, 2, v0
	v_lshl_or_b32 v1, s6, 7, v1
	v_mov_b32_e32 v2, 0
	v_lshlrev_b64 v[3:4], 1, v[1:2]
	s_waitcnt lgkmcnt(0)
	v_mov_b32_e32 v1, s1
	v_add_co_u32_e32 v3, vcc, s0, v3
	v_addc_co_u32_e32 v4, vcc, v1, v4, vcc
	global_load_dwordx2 v[3:4], v[3:4], off
	v_mbcnt_lo_u32_b32 v1, -1, 0
	v_mbcnt_hi_u32_b32 v5, -1, v1
	v_and_b32_e32 v1, 31, v5
	v_cmp_ne_u32_e32 vcc, 31, v1
	v_addc_co_u32_e32 v6, vcc, 0, v5, vcc
	v_lshlrev_b32_e32 v6, 2, v6
	v_cmp_gt_u32_e32 vcc, 30, v1
	s_mov_b32 s7, 0
	s_waitcnt vmcnt(0)
	v_add_f16_sdwa v3, v3, v3 dst_sel:DWORD dst_unused:UNUSED_PAD src0_sel:DWORD src1_sel:WORD_1
	v_add_f16_e32 v3, v3, v4
	v_add_f16_sdwa v3, v3, v4 dst_sel:DWORD dst_unused:UNUSED_PAD src0_sel:DWORD src1_sel:WORD_1
	ds_bpermute_b32 v4, v6, v3
	v_cndmask_b32_e64 v6, 0, 2, vcc
	v_add_lshl_u32 v6, v6, v5, 2
	v_cmp_gt_u32_e32 vcc, 28, v1
	s_waitcnt lgkmcnt(0)
	v_add_f16_e32 v3, v3, v4
	ds_bpermute_b32 v4, v6, v3
	v_cndmask_b32_e64 v6, 0, 4, vcc
	v_add_lshl_u32 v6, v6, v5, 2
	v_cmp_gt_u32_e32 vcc, 24, v1
	v_cndmask_b32_e64 v1, 0, 8, vcc
	s_waitcnt lgkmcnt(0)
	v_add_f16_e32 v3, v3, v4
	ds_bpermute_b32 v4, v6, v3
	v_add_lshl_u32 v1, v1, v5, 2
	v_cmp_eq_u32_e32 vcc, 0, v0
	s_waitcnt lgkmcnt(0)
	v_add_f16_e32 v3, v3, v4
	ds_bpermute_b32 v1, v1, v3
	s_waitcnt lgkmcnt(0)
	v_add_f16_e32 v1, v3, v1
	v_lshl_or_b32 v3, v5, 2, 64
	ds_bpermute_b32 v3, v3, v1
	s_and_saveexec_b64 s[0:1], vcc
	s_cbranch_execz .LBB94_2
; %bb.1:
	s_lshl_b64 s[0:1], s[6:7], 1
	s_add_u32 s0, s2, s0
	s_addc_u32 s1, s3, s1
	s_waitcnt lgkmcnt(0)
	v_add_f16_e32 v0, v1, v3
	global_store_short v2, v0, s[0:1]
.LBB94_2:
	s_endpgm
	.section	.rodata,"a",@progbits
	.p2align	6, 0x0
	.amdhsa_kernel _Z19reduce_array_kernelILj32ELj4ELN6hipcub20BlockReduceAlgorithmE0E6__halfEvPT2_S4_
		.amdhsa_group_segment_fixed_size 0
		.amdhsa_private_segment_fixed_size 0
		.amdhsa_kernarg_size 16
		.amdhsa_user_sgpr_count 6
		.amdhsa_user_sgpr_private_segment_buffer 1
		.amdhsa_user_sgpr_dispatch_ptr 0
		.amdhsa_user_sgpr_queue_ptr 0
		.amdhsa_user_sgpr_kernarg_segment_ptr 1
		.amdhsa_user_sgpr_dispatch_id 0
		.amdhsa_user_sgpr_flat_scratch_init 0
		.amdhsa_user_sgpr_private_segment_size 0
		.amdhsa_uses_dynamic_stack 0
		.amdhsa_system_sgpr_private_segment_wavefront_offset 0
		.amdhsa_system_sgpr_workgroup_id_x 1
		.amdhsa_system_sgpr_workgroup_id_y 0
		.amdhsa_system_sgpr_workgroup_id_z 0
		.amdhsa_system_sgpr_workgroup_info 0
		.amdhsa_system_vgpr_workitem_id 0
		.amdhsa_next_free_vgpr 7
		.amdhsa_next_free_sgpr 8
		.amdhsa_reserve_vcc 1
		.amdhsa_reserve_flat_scratch 0
		.amdhsa_float_round_mode_32 0
		.amdhsa_float_round_mode_16_64 0
		.amdhsa_float_denorm_mode_32 3
		.amdhsa_float_denorm_mode_16_64 3
		.amdhsa_dx10_clamp 1
		.amdhsa_ieee_mode 1
		.amdhsa_fp16_overflow 0
		.amdhsa_exception_fp_ieee_invalid_op 0
		.amdhsa_exception_fp_denorm_src 0
		.amdhsa_exception_fp_ieee_div_zero 0
		.amdhsa_exception_fp_ieee_overflow 0
		.amdhsa_exception_fp_ieee_underflow 0
		.amdhsa_exception_fp_ieee_inexact 0
		.amdhsa_exception_int_div_zero 0
	.end_amdhsa_kernel
	.section	.text._Z19reduce_array_kernelILj32ELj4ELN6hipcub20BlockReduceAlgorithmE0E6__halfEvPT2_S4_,"axG",@progbits,_Z19reduce_array_kernelILj32ELj4ELN6hipcub20BlockReduceAlgorithmE0E6__halfEvPT2_S4_,comdat
.Lfunc_end94:
	.size	_Z19reduce_array_kernelILj32ELj4ELN6hipcub20BlockReduceAlgorithmE0E6__halfEvPT2_S4_, .Lfunc_end94-_Z19reduce_array_kernelILj32ELj4ELN6hipcub20BlockReduceAlgorithmE0E6__halfEvPT2_S4_
                                        ; -- End function
	.set _Z19reduce_array_kernelILj32ELj4ELN6hipcub20BlockReduceAlgorithmE0E6__halfEvPT2_S4_.num_vgpr, 7
	.set _Z19reduce_array_kernelILj32ELj4ELN6hipcub20BlockReduceAlgorithmE0E6__halfEvPT2_S4_.num_agpr, 0
	.set _Z19reduce_array_kernelILj32ELj4ELN6hipcub20BlockReduceAlgorithmE0E6__halfEvPT2_S4_.numbered_sgpr, 8
	.set _Z19reduce_array_kernelILj32ELj4ELN6hipcub20BlockReduceAlgorithmE0E6__halfEvPT2_S4_.num_named_barrier, 0
	.set _Z19reduce_array_kernelILj32ELj4ELN6hipcub20BlockReduceAlgorithmE0E6__halfEvPT2_S4_.private_seg_size, 0
	.set _Z19reduce_array_kernelILj32ELj4ELN6hipcub20BlockReduceAlgorithmE0E6__halfEvPT2_S4_.uses_vcc, 1
	.set _Z19reduce_array_kernelILj32ELj4ELN6hipcub20BlockReduceAlgorithmE0E6__halfEvPT2_S4_.uses_flat_scratch, 0
	.set _Z19reduce_array_kernelILj32ELj4ELN6hipcub20BlockReduceAlgorithmE0E6__halfEvPT2_S4_.has_dyn_sized_stack, 0
	.set _Z19reduce_array_kernelILj32ELj4ELN6hipcub20BlockReduceAlgorithmE0E6__halfEvPT2_S4_.has_recursion, 0
	.set _Z19reduce_array_kernelILj32ELj4ELN6hipcub20BlockReduceAlgorithmE0E6__halfEvPT2_S4_.has_indirect_call, 0
	.section	.AMDGPU.csdata,"",@progbits
; Kernel info:
; codeLenInByte = 300
; TotalNumSgprs: 12
; NumVgprs: 7
; ScratchSize: 0
; MemoryBound: 0
; FloatMode: 240
; IeeeMode: 1
; LDSByteSize: 0 bytes/workgroup (compile time only)
; SGPRBlocks: 1
; VGPRBlocks: 1
; NumSGPRsForWavesPerEU: 12
; NumVGPRsForWavesPerEU: 7
; Occupancy: 10
; WaveLimiterHint : 0
; COMPUTE_PGM_RSRC2:SCRATCH_EN: 0
; COMPUTE_PGM_RSRC2:USER_SGPR: 6
; COMPUTE_PGM_RSRC2:TRAP_HANDLER: 0
; COMPUTE_PGM_RSRC2:TGID_X_EN: 1
; COMPUTE_PGM_RSRC2:TGID_Y_EN: 0
; COMPUTE_PGM_RSRC2:TGID_Z_EN: 0
; COMPUTE_PGM_RSRC2:TIDIG_COMP_CNT: 0
	.section	.text._Z19reduce_array_kernelILj255ELj15ELN6hipcub20BlockReduceAlgorithmE0EfEvPT2_S3_,"axG",@progbits,_Z19reduce_array_kernelILj255ELj15ELN6hipcub20BlockReduceAlgorithmE0EfEvPT2_S3_,comdat
	.protected	_Z19reduce_array_kernelILj255ELj15ELN6hipcub20BlockReduceAlgorithmE0EfEvPT2_S3_ ; -- Begin function _Z19reduce_array_kernelILj255ELj15ELN6hipcub20BlockReduceAlgorithmE0EfEvPT2_S3_
	.globl	_Z19reduce_array_kernelILj255ELj15ELN6hipcub20BlockReduceAlgorithmE0EfEvPT2_S3_
	.p2align	8
	.type	_Z19reduce_array_kernelILj255ELj15ELN6hipcub20BlockReduceAlgorithmE0EfEvPT2_S3_,@function
_Z19reduce_array_kernelILj255ELj15ELN6hipcub20BlockReduceAlgorithmE0EfEvPT2_S3_: ; @_Z19reduce_array_kernelILj255ELj15ELN6hipcub20BlockReduceAlgorithmE0EfEvPT2_S3_
; %bb.0:
	s_load_dwordx4 s[0:3], s[4:5], 0x0
	s_mul_i32 s4, s6, 0xff
	v_add_u32_e32 v1, s4, v0
	v_mul_lo_u32 v1, v1, 15
	v_mov_b32_e32 v2, 0
	s_waitcnt lgkmcnt(0)
	v_mov_b32_e32 v5, s1
	v_mov_b32_e32 v6, s1
	v_lshlrev_b64 v[3:4], 2, v[1:2]
	v_mov_b32_e32 v7, s1
	v_add_co_u32_e32 v3, vcc, s0, v3
	v_addc_co_u32_e32 v4, vcc, v5, v4, vcc
	global_load_dword v5, v[3:4], off
	v_add_u32_e32 v3, 1, v1
	v_mov_b32_e32 v4, v2
	v_lshlrev_b64 v[3:4], 2, v[3:4]
	v_mov_b32_e32 v8, s1
	v_add_co_u32_e32 v3, vcc, s0, v3
	v_addc_co_u32_e32 v4, vcc, v6, v4, vcc
	global_load_dword v6, v[3:4], off
	v_add_u32_e32 v3, 2, v1
	;; [unrolled: 7-line block ×12, first 2 shown]
	v_mov_b32_e32 v4, v2
	v_lshlrev_b64 v[3:4], 2, v[3:4]
	v_add_co_u32_e32 v3, vcc, s0, v3
	v_addc_co_u32_e32 v4, vcc, v17, v4, vcc
	global_load_dword v17, v[3:4], off
	v_add_u32_e32 v3, 13, v1
	v_mov_b32_e32 v4, v2
	v_lshlrev_b64 v[3:4], 2, v[3:4]
	v_add_u32_e32 v1, 14, v1
	v_add_co_u32_e32 v3, vcc, s0, v3
	v_lshlrev_b64 v[1:2], 2, v[1:2]
	v_addc_co_u32_e32 v4, vcc, v18, v4, vcc
	global_load_dword v3, v[3:4], off
	v_add_co_u32_e32 v1, vcc, s0, v1
	v_mov_b32_e32 v4, s1
	v_addc_co_u32_e32 v2, vcc, v4, v2, vcc
	global_load_dword v1, v[1:2], off
	s_waitcnt vmcnt(13)
	v_add_f32_e32 v2, v5, v6
	s_waitcnt vmcnt(12)
	v_add_f32_e32 v2, v7, v2
	;; [unrolled: 2-line block ×5, first 2 shown]
	s_movk_i32 s0, 0x100
	v_cmp_gt_u32_e32 vcc, s0, v0
	s_waitcnt vmcnt(8)
	v_add_f32_e32 v2, v11, v2
	s_waitcnt vmcnt(7)
	v_add_f32_e32 v2, v12, v2
	;; [unrolled: 2-line block ×8, first 2 shown]
	v_and_b32_e32 v3, 0xc0, v0
	v_xor_b32_e32 v3, 0xff, v3
	v_cndmask_b32_e32 v4, 0, v3, vcc
	s_waitcnt vmcnt(0)
	v_add_f32_e32 v2, v1, v2
	v_mbcnt_lo_u32_b32 v1, -1, 0
	v_mbcnt_hi_u32_b32 v1, -1, v1
	v_and_b32_e32 v3, 63, v1
	v_cmp_ne_u32_e32 vcc, 63, v3
	v_addc_co_u32_e32 v5, vcc, 0, v1, vcc
	v_lshlrev_b32_e32 v5, 2, v5
	ds_bpermute_b32 v5, v5, v2
	v_add_u32_e32 v6, 1, v1
	v_cmp_lt_u32_e32 vcc, v6, v4
	v_add_u32_e32 v6, 2, v1
	s_waitcnt lgkmcnt(0)
	v_add_f32_e32 v5, v2, v5
	v_cndmask_b32_e32 v2, v2, v5, vcc
	v_cmp_gt_u32_e32 vcc, 62, v3
	v_cndmask_b32_e64 v5, 0, 2, vcc
	v_add_lshl_u32 v5, v5, v1, 2
	ds_bpermute_b32 v5, v5, v2
	v_cmp_lt_u32_e32 vcc, v6, v4
	v_add_u32_e32 v6, 4, v1
	s_waitcnt lgkmcnt(0)
	v_add_f32_e32 v5, v2, v5
	v_cndmask_b32_e32 v2, v2, v5, vcc
	v_cmp_gt_u32_e32 vcc, 60, v3
	v_cndmask_b32_e64 v5, 0, 4, vcc
	v_add_lshl_u32 v5, v5, v1, 2
	ds_bpermute_b32 v5, v5, v2
	v_cmp_lt_u32_e32 vcc, v6, v4
	v_add_u32_e32 v6, 8, v1
	s_waitcnt lgkmcnt(0)
	v_add_f32_e32 v5, v2, v5
	v_cndmask_b32_e32 v2, v2, v5, vcc
	v_cmp_gt_u32_e32 vcc, 56, v3
	v_cndmask_b32_e64 v5, 0, 8, vcc
	v_add_lshl_u32 v5, v5, v1, 2
	ds_bpermute_b32 v5, v5, v2
	v_cmp_lt_u32_e32 vcc, v6, v4
	v_add_u32_e32 v6, 32, v1
	s_waitcnt lgkmcnt(0)
	v_add_f32_e32 v5, v2, v5
	v_cndmask_b32_e32 v2, v2, v5, vcc
	v_cmp_gt_u32_e32 vcc, 48, v3
	v_cndmask_b32_e64 v3, 0, 16, vcc
	v_add_lshl_u32 v3, v3, v1, 2
	ds_bpermute_b32 v3, v3, v2
	v_add_u32_e32 v5, 16, v1
	v_cmp_lt_u32_e32 vcc, v5, v4
	s_waitcnt lgkmcnt(0)
	v_add_f32_e32 v3, v2, v3
	v_cndmask_b32_e32 v2, v2, v3, vcc
	v_lshlrev_b32_e32 v3, 2, v1
	v_or_b32_e32 v5, 0x80, v3
	ds_bpermute_b32 v5, v5, v2
	v_cmp_lt_u32_e32 vcc, v6, v4
	s_waitcnt lgkmcnt(0)
	v_add_f32_e32 v4, v2, v5
	v_cndmask_b32_e32 v2, v2, v4, vcc
	v_cmp_eq_u32_e32 vcc, 0, v1
	s_and_saveexec_b64 s[0:1], vcc
; %bb.1:
	v_lshrrev_b32_e32 v4, 4, v0
	v_and_b32_e32 v4, 12, v4
	ds_write_b32 v4, v2
; %bb.2:
	s_or_b64 exec, exec, s[0:1]
	v_cmp_gt_u32_e32 vcc, 64, v0
	s_waitcnt lgkmcnt(0)
	s_barrier
	s_and_saveexec_b64 s[0:1], vcc
	s_cbranch_execz .LBB95_4
; %bb.3:
	v_and_b32_e32 v2, 3, v1
	v_lshlrev_b32_e32 v4, 2, v2
	ds_read_b32 v4, v4
	v_cmp_ne_u32_e32 vcc, 3, v2
	v_addc_co_u32_e32 v1, vcc, 0, v1, vcc
	v_lshlrev_b32_e32 v1, 2, v1
	s_waitcnt lgkmcnt(0)
	ds_bpermute_b32 v1, v1, v4
	v_or_b32_e32 v2, 8, v3
	s_waitcnt lgkmcnt(0)
	v_add_f32_e32 v1, v4, v1
	ds_bpermute_b32 v2, v2, v1
	s_waitcnt lgkmcnt(0)
	v_add_f32_e32 v2, v1, v2
.LBB95_4:
	s_or_b64 exec, exec, s[0:1]
	s_mov_b32 s7, 0
	v_cmp_eq_u32_e32 vcc, 0, v0
	s_and_saveexec_b64 s[0:1], vcc
	s_cbranch_execz .LBB95_6
; %bb.5:
	s_lshl_b64 s[0:1], s[6:7], 2
	s_add_u32 s0, s2, s0
	s_addc_u32 s1, s3, s1
	v_mov_b32_e32 v0, 0
	global_store_dword v0, v2, s[0:1]
.LBB95_6:
	s_endpgm
	.section	.rodata,"a",@progbits
	.p2align	6, 0x0
	.amdhsa_kernel _Z19reduce_array_kernelILj255ELj15ELN6hipcub20BlockReduceAlgorithmE0EfEvPT2_S3_
		.amdhsa_group_segment_fixed_size 16
		.amdhsa_private_segment_fixed_size 0
		.amdhsa_kernarg_size 16
		.amdhsa_user_sgpr_count 6
		.amdhsa_user_sgpr_private_segment_buffer 1
		.amdhsa_user_sgpr_dispatch_ptr 0
		.amdhsa_user_sgpr_queue_ptr 0
		.amdhsa_user_sgpr_kernarg_segment_ptr 1
		.amdhsa_user_sgpr_dispatch_id 0
		.amdhsa_user_sgpr_flat_scratch_init 0
		.amdhsa_user_sgpr_private_segment_size 0
		.amdhsa_uses_dynamic_stack 0
		.amdhsa_system_sgpr_private_segment_wavefront_offset 0
		.amdhsa_system_sgpr_workgroup_id_x 1
		.amdhsa_system_sgpr_workgroup_id_y 0
		.amdhsa_system_sgpr_workgroup_id_z 0
		.amdhsa_system_sgpr_workgroup_info 0
		.amdhsa_system_vgpr_workitem_id 0
		.amdhsa_next_free_vgpr 19
		.amdhsa_next_free_sgpr 8
		.amdhsa_reserve_vcc 1
		.amdhsa_reserve_flat_scratch 0
		.amdhsa_float_round_mode_32 0
		.amdhsa_float_round_mode_16_64 0
		.amdhsa_float_denorm_mode_32 3
		.amdhsa_float_denorm_mode_16_64 3
		.amdhsa_dx10_clamp 1
		.amdhsa_ieee_mode 1
		.amdhsa_fp16_overflow 0
		.amdhsa_exception_fp_ieee_invalid_op 0
		.amdhsa_exception_fp_denorm_src 0
		.amdhsa_exception_fp_ieee_div_zero 0
		.amdhsa_exception_fp_ieee_overflow 0
		.amdhsa_exception_fp_ieee_underflow 0
		.amdhsa_exception_fp_ieee_inexact 0
		.amdhsa_exception_int_div_zero 0
	.end_amdhsa_kernel
	.section	.text._Z19reduce_array_kernelILj255ELj15ELN6hipcub20BlockReduceAlgorithmE0EfEvPT2_S3_,"axG",@progbits,_Z19reduce_array_kernelILj255ELj15ELN6hipcub20BlockReduceAlgorithmE0EfEvPT2_S3_,comdat
.Lfunc_end95:
	.size	_Z19reduce_array_kernelILj255ELj15ELN6hipcub20BlockReduceAlgorithmE0EfEvPT2_S3_, .Lfunc_end95-_Z19reduce_array_kernelILj255ELj15ELN6hipcub20BlockReduceAlgorithmE0EfEvPT2_S3_
                                        ; -- End function
	.set _Z19reduce_array_kernelILj255ELj15ELN6hipcub20BlockReduceAlgorithmE0EfEvPT2_S3_.num_vgpr, 19
	.set _Z19reduce_array_kernelILj255ELj15ELN6hipcub20BlockReduceAlgorithmE0EfEvPT2_S3_.num_agpr, 0
	.set _Z19reduce_array_kernelILj255ELj15ELN6hipcub20BlockReduceAlgorithmE0EfEvPT2_S3_.numbered_sgpr, 8
	.set _Z19reduce_array_kernelILj255ELj15ELN6hipcub20BlockReduceAlgorithmE0EfEvPT2_S3_.num_named_barrier, 0
	.set _Z19reduce_array_kernelILj255ELj15ELN6hipcub20BlockReduceAlgorithmE0EfEvPT2_S3_.private_seg_size, 0
	.set _Z19reduce_array_kernelILj255ELj15ELN6hipcub20BlockReduceAlgorithmE0EfEvPT2_S3_.uses_vcc, 1
	.set _Z19reduce_array_kernelILj255ELj15ELN6hipcub20BlockReduceAlgorithmE0EfEvPT2_S3_.uses_flat_scratch, 0
	.set _Z19reduce_array_kernelILj255ELj15ELN6hipcub20BlockReduceAlgorithmE0EfEvPT2_S3_.has_dyn_sized_stack, 0
	.set _Z19reduce_array_kernelILj255ELj15ELN6hipcub20BlockReduceAlgorithmE0EfEvPT2_S3_.has_recursion, 0
	.set _Z19reduce_array_kernelILj255ELj15ELN6hipcub20BlockReduceAlgorithmE0EfEvPT2_S3_.has_indirect_call, 0
	.section	.AMDGPU.csdata,"",@progbits
; Kernel info:
; codeLenInByte = 1160
; TotalNumSgprs: 12
; NumVgprs: 19
; ScratchSize: 0
; MemoryBound: 0
; FloatMode: 240
; IeeeMode: 1
; LDSByteSize: 16 bytes/workgroup (compile time only)
; SGPRBlocks: 1
; VGPRBlocks: 4
; NumSGPRsForWavesPerEU: 12
; NumVGPRsForWavesPerEU: 19
; Occupancy: 10
; WaveLimiterHint : 0
; COMPUTE_PGM_RSRC2:SCRATCH_EN: 0
; COMPUTE_PGM_RSRC2:USER_SGPR: 6
; COMPUTE_PGM_RSRC2:TRAP_HANDLER: 0
; COMPUTE_PGM_RSRC2:TGID_X_EN: 1
; COMPUTE_PGM_RSRC2:TGID_Y_EN: 0
; COMPUTE_PGM_RSRC2:TGID_Z_EN: 0
; COMPUTE_PGM_RSRC2:TIDIG_COMP_CNT: 0
	.section	.text._Z19reduce_array_kernelILj162ELj7ELN6hipcub20BlockReduceAlgorithmE0EfEvPT2_S3_,"axG",@progbits,_Z19reduce_array_kernelILj162ELj7ELN6hipcub20BlockReduceAlgorithmE0EfEvPT2_S3_,comdat
	.protected	_Z19reduce_array_kernelILj162ELj7ELN6hipcub20BlockReduceAlgorithmE0EfEvPT2_S3_ ; -- Begin function _Z19reduce_array_kernelILj162ELj7ELN6hipcub20BlockReduceAlgorithmE0EfEvPT2_S3_
	.globl	_Z19reduce_array_kernelILj162ELj7ELN6hipcub20BlockReduceAlgorithmE0EfEvPT2_S3_
	.p2align	8
	.type	_Z19reduce_array_kernelILj162ELj7ELN6hipcub20BlockReduceAlgorithmE0EfEvPT2_S3_,@function
_Z19reduce_array_kernelILj162ELj7ELN6hipcub20BlockReduceAlgorithmE0EfEvPT2_S3_: ; @_Z19reduce_array_kernelILj162ELj7ELN6hipcub20BlockReduceAlgorithmE0EfEvPT2_S3_
; %bb.0:
	s_load_dwordx4 s[0:3], s[4:5], 0x0
	s_mul_i32 s4, s6, 0xa2
	v_add_u32_e32 v1, s4, v0
	v_mul_lo_u32 v1, v1, 7
	v_mov_b32_e32 v2, 0
	s_waitcnt lgkmcnt(0)
	v_mov_b32_e32 v5, s1
	v_mov_b32_e32 v6, v2
	v_lshlrev_b64 v[3:4], 2, v[1:2]
	v_mov_b32_e32 v7, s1
	v_add_co_u32_e32 v3, vcc, s0, v3
	v_addc_co_u32_e32 v4, vcc, v5, v4, vcc
	v_add_u32_e32 v5, 1, v1
	v_lshlrev_b64 v[5:6], 2, v[5:6]
	v_mov_b32_e32 v8, v2
	v_add_co_u32_e32 v5, vcc, s0, v5
	v_addc_co_u32_e32 v6, vcc, v7, v6, vcc
	v_add_u32_e32 v7, 2, v1
	;; [unrolled: 5-line block ×3, first 2 shown]
	v_mov_b32_e32 v10, v2
	v_lshlrev_b64 v[9:10], 2, v[9:10]
	v_mov_b32_e32 v11, s1
	v_add_co_u32_e32 v9, vcc, s0, v9
	v_addc_co_u32_e32 v10, vcc, v11, v10, vcc
	v_add_u32_e32 v11, 4, v1
	v_mov_b32_e32 v12, v2
	v_lshlrev_b64 v[11:12], 2, v[11:12]
	v_mov_b32_e32 v13, s1
	v_add_co_u32_e32 v11, vcc, s0, v11
	v_addc_co_u32_e32 v12, vcc, v13, v12, vcc
	v_add_u32_e32 v13, 5, v1
	v_mov_b32_e32 v14, v2
	v_lshlrev_b64 v[13:14], 2, v[13:14]
	v_add_u32_e32 v1, 6, v1
	v_mov_b32_e32 v15, s1
	v_add_co_u32_e32 v13, vcc, s0, v13
	v_lshlrev_b64 v[1:2], 2, v[1:2]
	v_addc_co_u32_e32 v14, vcc, v15, v14, vcc
	v_add_co_u32_e32 v1, vcc, s0, v1
	v_addc_co_u32_e32 v2, vcc, v15, v2, vcc
	global_load_dword v15, v[3:4], off
	global_load_dword v16, v[5:6], off
	;; [unrolled: 1-line block ×7, first 2 shown]
	v_mbcnt_lo_u32_b32 v1, -1, 0
	v_mbcnt_hi_u32_b32 v1, -1, v1
	v_and_b32_e32 v3, 63, v1
	v_cmp_ne_u32_e32 vcc, 63, v3
	v_addc_co_u32_e32 v5, vcc, 0, v1, vcc
	v_lshlrev_b32_e32 v5, 2, v5
	s_movk_i32 s0, 0xc0
	v_and_b32_e32 v2, 0xc0, v0
	v_sub_u32_e32 v2, 0xa2, v2
	v_cmp_gt_u32_e32 vcc, s0, v0
	v_add_u32_e32 v4, 1, v1
	v_cndmask_b32_e32 v7, 0, v2, vcc
	v_cmp_gt_u32_e32 vcc, 62, v3
	v_cndmask_b32_e64 v2, 0, 2, vcc
	v_cmp_lt_u32_e32 vcc, v4, v7
	v_add_lshl_u32 v2, v2, v1, 2
	s_waitcnt vmcnt(5)
	v_add_f32_e32 v6, v15, v16
	s_waitcnt vmcnt(4)
	v_add_f32_e32 v6, v17, v6
	;; [unrolled: 2-line block ×6, first 2 shown]
	ds_bpermute_b32 v5, v5, v6
	s_waitcnt lgkmcnt(0)
	v_add_f32_e32 v5, v6, v5
	v_cndmask_b32_e32 v4, v6, v5, vcc
	ds_bpermute_b32 v2, v2, v4
	v_add_u32_e32 v5, 2, v1
	v_cmp_gt_u32_e32 vcc, 60, v3
	v_cndmask_b32_e64 v6, 0, 4, vcc
	v_cmp_lt_u32_e32 vcc, v5, v7
	s_waitcnt lgkmcnt(0)
	v_add_f32_e32 v2, v4, v2
	v_add_lshl_u32 v6, v6, v1, 2
	v_cndmask_b32_e32 v2, v4, v2, vcc
	ds_bpermute_b32 v4, v6, v2
	v_add_u32_e32 v5, 4, v1
	v_cmp_gt_u32_e32 vcc, 56, v3
	v_cndmask_b32_e64 v6, 0, 8, vcc
	v_cmp_lt_u32_e32 vcc, v5, v7
	s_waitcnt lgkmcnt(0)
	v_add_f32_e32 v4, v2, v4
	v_add_lshl_u32 v6, v6, v1, 2
	;; [unrolled: 9-line block ×3, first 2 shown]
	v_cndmask_b32_e32 v4, v2, v4, vcc
	ds_bpermute_b32 v3, v3, v4
	v_add_u32_e32 v5, 16, v1
	v_lshlrev_b32_e32 v2, 2, v1
	v_cmp_lt_u32_e32 vcc, v5, v7
	v_or_b32_e32 v6, 0x80, v2
	s_waitcnt lgkmcnt(0)
	v_add_f32_e32 v3, v4, v3
	v_cndmask_b32_e32 v3, v4, v3, vcc
	ds_bpermute_b32 v4, v6, v3
	v_add_u32_e32 v5, 32, v1
	v_cmp_lt_u32_e32 vcc, v5, v7
	s_waitcnt lgkmcnt(0)
	v_add_f32_e32 v4, v3, v4
	v_cndmask_b32_e32 v3, v3, v4, vcc
	v_cmp_eq_u32_e32 vcc, 0, v1
	s_and_saveexec_b64 s[0:1], vcc
; %bb.1:
	v_lshrrev_b32_e32 v4, 4, v0
	v_and_b32_e32 v4, 12, v4
	ds_write_b32 v4, v3
; %bb.2:
	s_or_b64 exec, exec, s[0:1]
	v_cmp_gt_u32_e32 vcc, 64, v0
	s_waitcnt lgkmcnt(0)
	s_barrier
	s_and_saveexec_b64 s[4:5], vcc
	s_cbranch_execz .LBB96_4
; %bb.3:
	s_mov_b32 s0, 0x55555556
	v_mul_hi_u32 v3, v1, s0
	v_and_b32_e32 v4, 3, v1
	v_cmp_ne_u32_e32 vcc, 3, v4
	v_or_b32_e32 v2, 8, v2
	v_mul_u32_u24_e32 v3, 3, v3
	v_sub_u32_e32 v3, v1, v3
	v_lshlrev_b32_e32 v3, 2, v3
	ds_read_b32 v3, v3
	v_addc_co_u32_e32 v1, vcc, 0, v1, vcc
	v_lshlrev_b32_e32 v1, 2, v1
	v_cmp_gt_u32_e32 vcc, 2, v4
	s_waitcnt lgkmcnt(0)
	ds_bpermute_b32 v1, v1, v3
	v_cmp_eq_u32_e64 s[0:1], 0, v4
	s_waitcnt lgkmcnt(0)
	v_add_f32_e32 v1, v3, v1
	v_cndmask_b32_e32 v5, v3, v1, vcc
	ds_bpermute_b32 v2, v2, v5
	s_waitcnt lgkmcnt(0)
	v_add_f32_e32 v2, v1, v2
	v_cndmask_b32_e64 v1, v1, v2, s[0:1]
	v_cndmask_b32_e32 v3, v3, v1, vcc
.LBB96_4:
	s_or_b64 exec, exec, s[4:5]
	s_mov_b32 s7, 0
	v_cmp_eq_u32_e32 vcc, 0, v0
	s_and_saveexec_b64 s[0:1], vcc
	s_cbranch_execz .LBB96_6
; %bb.5:
	s_lshl_b64 s[0:1], s[6:7], 2
	s_add_u32 s0, s2, s0
	s_addc_u32 s1, s3, s1
	v_mov_b32_e32 v0, 0
	global_store_dword v0, v3, s[0:1]
.LBB96_6:
	s_endpgm
	.section	.rodata,"a",@progbits
	.p2align	6, 0x0
	.amdhsa_kernel _Z19reduce_array_kernelILj162ELj7ELN6hipcub20BlockReduceAlgorithmE0EfEvPT2_S3_
		.amdhsa_group_segment_fixed_size 12
		.amdhsa_private_segment_fixed_size 0
		.amdhsa_kernarg_size 16
		.amdhsa_user_sgpr_count 6
		.amdhsa_user_sgpr_private_segment_buffer 1
		.amdhsa_user_sgpr_dispatch_ptr 0
		.amdhsa_user_sgpr_queue_ptr 0
		.amdhsa_user_sgpr_kernarg_segment_ptr 1
		.amdhsa_user_sgpr_dispatch_id 0
		.amdhsa_user_sgpr_flat_scratch_init 0
		.amdhsa_user_sgpr_private_segment_size 0
		.amdhsa_uses_dynamic_stack 0
		.amdhsa_system_sgpr_private_segment_wavefront_offset 0
		.amdhsa_system_sgpr_workgroup_id_x 1
		.amdhsa_system_sgpr_workgroup_id_y 0
		.amdhsa_system_sgpr_workgroup_id_z 0
		.amdhsa_system_sgpr_workgroup_info 0
		.amdhsa_system_vgpr_workitem_id 0
		.amdhsa_next_free_vgpr 22
		.amdhsa_next_free_sgpr 8
		.amdhsa_reserve_vcc 1
		.amdhsa_reserve_flat_scratch 0
		.amdhsa_float_round_mode_32 0
		.amdhsa_float_round_mode_16_64 0
		.amdhsa_float_denorm_mode_32 3
		.amdhsa_float_denorm_mode_16_64 3
		.amdhsa_dx10_clamp 1
		.amdhsa_ieee_mode 1
		.amdhsa_fp16_overflow 0
		.amdhsa_exception_fp_ieee_invalid_op 0
		.amdhsa_exception_fp_denorm_src 0
		.amdhsa_exception_fp_ieee_div_zero 0
		.amdhsa_exception_fp_ieee_overflow 0
		.amdhsa_exception_fp_ieee_underflow 0
		.amdhsa_exception_fp_ieee_inexact 0
		.amdhsa_exception_int_div_zero 0
	.end_amdhsa_kernel
	.section	.text._Z19reduce_array_kernelILj162ELj7ELN6hipcub20BlockReduceAlgorithmE0EfEvPT2_S3_,"axG",@progbits,_Z19reduce_array_kernelILj162ELj7ELN6hipcub20BlockReduceAlgorithmE0EfEvPT2_S3_,comdat
.Lfunc_end96:
	.size	_Z19reduce_array_kernelILj162ELj7ELN6hipcub20BlockReduceAlgorithmE0EfEvPT2_S3_, .Lfunc_end96-_Z19reduce_array_kernelILj162ELj7ELN6hipcub20BlockReduceAlgorithmE0EfEvPT2_S3_
                                        ; -- End function
	.set _Z19reduce_array_kernelILj162ELj7ELN6hipcub20BlockReduceAlgorithmE0EfEvPT2_S3_.num_vgpr, 22
	.set _Z19reduce_array_kernelILj162ELj7ELN6hipcub20BlockReduceAlgorithmE0EfEvPT2_S3_.num_agpr, 0
	.set _Z19reduce_array_kernelILj162ELj7ELN6hipcub20BlockReduceAlgorithmE0EfEvPT2_S3_.numbered_sgpr, 8
	.set _Z19reduce_array_kernelILj162ELj7ELN6hipcub20BlockReduceAlgorithmE0EfEvPT2_S3_.num_named_barrier, 0
	.set _Z19reduce_array_kernelILj162ELj7ELN6hipcub20BlockReduceAlgorithmE0EfEvPT2_S3_.private_seg_size, 0
	.set _Z19reduce_array_kernelILj162ELj7ELN6hipcub20BlockReduceAlgorithmE0EfEvPT2_S3_.uses_vcc, 1
	.set _Z19reduce_array_kernelILj162ELj7ELN6hipcub20BlockReduceAlgorithmE0EfEvPT2_S3_.uses_flat_scratch, 0
	.set _Z19reduce_array_kernelILj162ELj7ELN6hipcub20BlockReduceAlgorithmE0EfEvPT2_S3_.has_dyn_sized_stack, 0
	.set _Z19reduce_array_kernelILj162ELj7ELN6hipcub20BlockReduceAlgorithmE0EfEvPT2_S3_.has_recursion, 0
	.set _Z19reduce_array_kernelILj162ELj7ELN6hipcub20BlockReduceAlgorithmE0EfEvPT2_S3_.has_indirect_call, 0
	.section	.AMDGPU.csdata,"",@progbits
; Kernel info:
; codeLenInByte = 856
; TotalNumSgprs: 12
; NumVgprs: 22
; ScratchSize: 0
; MemoryBound: 0
; FloatMode: 240
; IeeeMode: 1
; LDSByteSize: 12 bytes/workgroup (compile time only)
; SGPRBlocks: 1
; VGPRBlocks: 5
; NumSGPRsForWavesPerEU: 12
; NumVGPRsForWavesPerEU: 22
; Occupancy: 10
; WaveLimiterHint : 0
; COMPUTE_PGM_RSRC2:SCRATCH_EN: 0
; COMPUTE_PGM_RSRC2:USER_SGPR: 6
; COMPUTE_PGM_RSRC2:TRAP_HANDLER: 0
; COMPUTE_PGM_RSRC2:TGID_X_EN: 1
; COMPUTE_PGM_RSRC2:TGID_Y_EN: 0
; COMPUTE_PGM_RSRC2:TGID_Z_EN: 0
; COMPUTE_PGM_RSRC2:TIDIG_COMP_CNT: 0
	.section	.text._Z19reduce_array_kernelILj65ELj5ELN6hipcub20BlockReduceAlgorithmE0EfEvPT2_S3_,"axG",@progbits,_Z19reduce_array_kernelILj65ELj5ELN6hipcub20BlockReduceAlgorithmE0EfEvPT2_S3_,comdat
	.protected	_Z19reduce_array_kernelILj65ELj5ELN6hipcub20BlockReduceAlgorithmE0EfEvPT2_S3_ ; -- Begin function _Z19reduce_array_kernelILj65ELj5ELN6hipcub20BlockReduceAlgorithmE0EfEvPT2_S3_
	.globl	_Z19reduce_array_kernelILj65ELj5ELN6hipcub20BlockReduceAlgorithmE0EfEvPT2_S3_
	.p2align	8
	.type	_Z19reduce_array_kernelILj65ELj5ELN6hipcub20BlockReduceAlgorithmE0EfEvPT2_S3_,@function
_Z19reduce_array_kernelILj65ELj5ELN6hipcub20BlockReduceAlgorithmE0EfEvPT2_S3_: ; @_Z19reduce_array_kernelILj65ELj5ELN6hipcub20BlockReduceAlgorithmE0EfEvPT2_S3_
; %bb.0:
	s_load_dwordx4 s[0:3], s[4:5], 0x0
	s_mul_i32 s4, s6, 0x41
	v_add_u32_e32 v1, s4, v0
	v_lshl_add_u32 v1, v1, 2, v1
	v_mov_b32_e32 v2, 0
	v_lshlrev_b64 v[3:4], 2, v[1:2]
	s_waitcnt lgkmcnt(0)
	v_mov_b32_e32 v5, s1
	v_add_co_u32_e32 v3, vcc, s0, v3
	v_addc_co_u32_e32 v4, vcc, v5, v4, vcc
	v_add_u32_e32 v5, 1, v1
	v_mov_b32_e32 v6, v2
	v_lshlrev_b64 v[5:6], 2, v[5:6]
	v_mov_b32_e32 v7, s1
	v_add_co_u32_e32 v5, vcc, s0, v5
	v_addc_co_u32_e32 v6, vcc, v7, v6, vcc
	v_add_u32_e32 v7, 2, v1
	v_mov_b32_e32 v8, v2
	v_lshlrev_b64 v[7:8], 2, v[7:8]
	;; [unrolled: 6-line block ×3, first 2 shown]
	v_add_u32_e32 v1, 4, v1
	v_mov_b32_e32 v11, s1
	v_add_co_u32_e32 v9, vcc, s0, v9
	v_lshlrev_b64 v[1:2], 2, v[1:2]
	v_addc_co_u32_e32 v10, vcc, v11, v10, vcc
	v_add_co_u32_e32 v1, vcc, s0, v1
	v_addc_co_u32_e32 v2, vcc, v11, v2, vcc
	global_load_dword v11, v[3:4], off
	global_load_dword v12, v[5:6], off
	;; [unrolled: 1-line block ×5, first 2 shown]
	v_mbcnt_lo_u32_b32 v1, -1, 0
	v_mbcnt_hi_u32_b32 v1, -1, v1
	v_and_b32_e32 v3, 63, v1
	v_cmp_ne_u32_e32 vcc, 63, v3
	v_addc_co_u32_e32 v5, vcc, 0, v1, vcc
	v_lshlrev_b32_e32 v5, 2, v5
	s_movk_i32 s0, 0x80
	v_and_b32_e32 v2, 64, v0
	v_xor_b32_e32 v2, 0x41, v2
	v_cmp_gt_u32_e32 vcc, s0, v0
	v_add_u32_e32 v4, 1, v1
	v_cndmask_b32_e32 v2, 0, v2, vcc
	v_cmp_gt_u32_e32 vcc, 62, v3
	v_cndmask_b32_e64 v7, 0, 2, vcc
	v_cmp_lt_u32_e32 vcc, v4, v2
	v_add_lshl_u32 v7, v7, v1, 2
	s_waitcnt vmcnt(3)
	v_add_f32_e32 v6, v11, v12
	s_waitcnt vmcnt(2)
	v_add_f32_e32 v6, v13, v6
	;; [unrolled: 2-line block ×4, first 2 shown]
	ds_bpermute_b32 v5, v5, v6
	s_waitcnt lgkmcnt(0)
	v_add_f32_e32 v5, v6, v5
	v_cndmask_b32_e32 v4, v6, v5, vcc
	ds_bpermute_b32 v5, v7, v4
	v_add_u32_e32 v6, 2, v1
	v_cmp_gt_u32_e32 vcc, 60, v3
	v_cndmask_b32_e64 v7, 0, 4, vcc
	v_cmp_lt_u32_e32 vcc, v6, v2
	s_waitcnt lgkmcnt(0)
	v_add_f32_e32 v5, v4, v5
	v_add_lshl_u32 v7, v7, v1, 2
	v_cndmask_b32_e32 v4, v4, v5, vcc
	ds_bpermute_b32 v5, v7, v4
	v_add_u32_e32 v6, 4, v1
	v_cmp_gt_u32_e32 vcc, 56, v3
	v_cndmask_b32_e64 v7, 0, 8, vcc
	v_cmp_lt_u32_e32 vcc, v6, v2
	s_waitcnt lgkmcnt(0)
	v_add_f32_e32 v5, v4, v5
	v_add_lshl_u32 v7, v7, v1, 2
	;; [unrolled: 9-line block ×3, first 2 shown]
	v_cndmask_b32_e32 v4, v4, v5, vcc
	ds_bpermute_b32 v5, v3, v4
	v_add_u32_e32 v6, 16, v1
	v_lshlrev_b32_e32 v3, 2, v1
	v_cmp_lt_u32_e32 vcc, v6, v2
	v_or_b32_e32 v7, 0x80, v3
	s_waitcnt lgkmcnt(0)
	v_add_f32_e32 v5, v4, v5
	v_cndmask_b32_e32 v4, v4, v5, vcc
	ds_bpermute_b32 v5, v7, v4
	v_add_u32_e32 v6, 32, v1
	v_cmp_lt_u32_e32 vcc, v6, v2
	s_waitcnt lgkmcnt(0)
	v_add_f32_e32 v5, v4, v5
	v_cndmask_b32_e32 v2, v4, v5, vcc
	v_cmp_eq_u32_e32 vcc, 0, v1
	s_and_saveexec_b64 s[0:1], vcc
; %bb.1:
	v_lshrrev_b32_e32 v4, 4, v0
	v_and_b32_e32 v4, 4, v4
	ds_write_b32 v4, v2
; %bb.2:
	s_or_b64 exec, exec, s[0:1]
	v_cmp_gt_u32_e32 vcc, 64, v0
	s_waitcnt lgkmcnt(0)
	s_barrier
	s_and_saveexec_b64 s[0:1], vcc
	s_cbranch_execz .LBB97_4
; %bb.3:
	v_and_b32_e32 v1, 1, v1
	v_lshlrev_b32_e32 v1, 2, v1
	ds_read_b32 v1, v1
	v_or_b32_e32 v2, 4, v3
	s_waitcnt lgkmcnt(0)
	ds_bpermute_b32 v2, v2, v1
	s_waitcnt lgkmcnt(0)
	v_add_f32_e32 v2, v1, v2
.LBB97_4:
	s_or_b64 exec, exec, s[0:1]
	s_mov_b32 s7, 0
	v_cmp_eq_u32_e32 vcc, 0, v0
	s_and_saveexec_b64 s[0:1], vcc
	s_cbranch_execz .LBB97_6
; %bb.5:
	s_lshl_b64 s[0:1], s[6:7], 2
	s_add_u32 s0, s2, s0
	s_addc_u32 s1, s3, s1
	v_mov_b32_e32 v0, 0
	global_store_dword v0, v2, s[0:1]
.LBB97_6:
	s_endpgm
	.section	.rodata,"a",@progbits
	.p2align	6, 0x0
	.amdhsa_kernel _Z19reduce_array_kernelILj65ELj5ELN6hipcub20BlockReduceAlgorithmE0EfEvPT2_S3_
		.amdhsa_group_segment_fixed_size 8
		.amdhsa_private_segment_fixed_size 0
		.amdhsa_kernarg_size 16
		.amdhsa_user_sgpr_count 6
		.amdhsa_user_sgpr_private_segment_buffer 1
		.amdhsa_user_sgpr_dispatch_ptr 0
		.amdhsa_user_sgpr_queue_ptr 0
		.amdhsa_user_sgpr_kernarg_segment_ptr 1
		.amdhsa_user_sgpr_dispatch_id 0
		.amdhsa_user_sgpr_flat_scratch_init 0
		.amdhsa_user_sgpr_private_segment_size 0
		.amdhsa_uses_dynamic_stack 0
		.amdhsa_system_sgpr_private_segment_wavefront_offset 0
		.amdhsa_system_sgpr_workgroup_id_x 1
		.amdhsa_system_sgpr_workgroup_id_y 0
		.amdhsa_system_sgpr_workgroup_id_z 0
		.amdhsa_system_sgpr_workgroup_info 0
		.amdhsa_system_vgpr_workitem_id 0
		.amdhsa_next_free_vgpr 16
		.amdhsa_next_free_sgpr 8
		.amdhsa_reserve_vcc 1
		.amdhsa_reserve_flat_scratch 0
		.amdhsa_float_round_mode_32 0
		.amdhsa_float_round_mode_16_64 0
		.amdhsa_float_denorm_mode_32 3
		.amdhsa_float_denorm_mode_16_64 3
		.amdhsa_dx10_clamp 1
		.amdhsa_ieee_mode 1
		.amdhsa_fp16_overflow 0
		.amdhsa_exception_fp_ieee_invalid_op 0
		.amdhsa_exception_fp_denorm_src 0
		.amdhsa_exception_fp_ieee_div_zero 0
		.amdhsa_exception_fp_ieee_overflow 0
		.amdhsa_exception_fp_ieee_underflow 0
		.amdhsa_exception_fp_ieee_inexact 0
		.amdhsa_exception_int_div_zero 0
	.end_amdhsa_kernel
	.section	.text._Z19reduce_array_kernelILj65ELj5ELN6hipcub20BlockReduceAlgorithmE0EfEvPT2_S3_,"axG",@progbits,_Z19reduce_array_kernelILj65ELj5ELN6hipcub20BlockReduceAlgorithmE0EfEvPT2_S3_,comdat
.Lfunc_end97:
	.size	_Z19reduce_array_kernelILj65ELj5ELN6hipcub20BlockReduceAlgorithmE0EfEvPT2_S3_, .Lfunc_end97-_Z19reduce_array_kernelILj65ELj5ELN6hipcub20BlockReduceAlgorithmE0EfEvPT2_S3_
                                        ; -- End function
	.set _Z19reduce_array_kernelILj65ELj5ELN6hipcub20BlockReduceAlgorithmE0EfEvPT2_S3_.num_vgpr, 16
	.set _Z19reduce_array_kernelILj65ELj5ELN6hipcub20BlockReduceAlgorithmE0EfEvPT2_S3_.num_agpr, 0
	.set _Z19reduce_array_kernelILj65ELj5ELN6hipcub20BlockReduceAlgorithmE0EfEvPT2_S3_.numbered_sgpr, 8
	.set _Z19reduce_array_kernelILj65ELj5ELN6hipcub20BlockReduceAlgorithmE0EfEvPT2_S3_.num_named_barrier, 0
	.set _Z19reduce_array_kernelILj65ELj5ELN6hipcub20BlockReduceAlgorithmE0EfEvPT2_S3_.private_seg_size, 0
	.set _Z19reduce_array_kernelILj65ELj5ELN6hipcub20BlockReduceAlgorithmE0EfEvPT2_S3_.uses_vcc, 1
	.set _Z19reduce_array_kernelILj65ELj5ELN6hipcub20BlockReduceAlgorithmE0EfEvPT2_S3_.uses_flat_scratch, 0
	.set _Z19reduce_array_kernelILj65ELj5ELN6hipcub20BlockReduceAlgorithmE0EfEvPT2_S3_.has_dyn_sized_stack, 0
	.set _Z19reduce_array_kernelILj65ELj5ELN6hipcub20BlockReduceAlgorithmE0EfEvPT2_S3_.has_recursion, 0
	.set _Z19reduce_array_kernelILj65ELj5ELN6hipcub20BlockReduceAlgorithmE0EfEvPT2_S3_.has_indirect_call, 0
	.section	.AMDGPU.csdata,"",@progbits
; Kernel info:
; codeLenInByte = 684
; TotalNumSgprs: 12
; NumVgprs: 16
; ScratchSize: 0
; MemoryBound: 0
; FloatMode: 240
; IeeeMode: 1
; LDSByteSize: 8 bytes/workgroup (compile time only)
; SGPRBlocks: 1
; VGPRBlocks: 3
; NumSGPRsForWavesPerEU: 12
; NumVGPRsForWavesPerEU: 16
; Occupancy: 10
; WaveLimiterHint : 0
; COMPUTE_PGM_RSRC2:SCRATCH_EN: 0
; COMPUTE_PGM_RSRC2:USER_SGPR: 6
; COMPUTE_PGM_RSRC2:TRAP_HANDLER: 0
; COMPUTE_PGM_RSRC2:TGID_X_EN: 1
; COMPUTE_PGM_RSRC2:TGID_Y_EN: 0
; COMPUTE_PGM_RSRC2:TGID_Z_EN: 0
; COMPUTE_PGM_RSRC2:TIDIG_COMP_CNT: 0
	.section	.text._Z19reduce_array_kernelILj37ELj2ELN6hipcub20BlockReduceAlgorithmE0EfEvPT2_S3_,"axG",@progbits,_Z19reduce_array_kernelILj37ELj2ELN6hipcub20BlockReduceAlgorithmE0EfEvPT2_S3_,comdat
	.protected	_Z19reduce_array_kernelILj37ELj2ELN6hipcub20BlockReduceAlgorithmE0EfEvPT2_S3_ ; -- Begin function _Z19reduce_array_kernelILj37ELj2ELN6hipcub20BlockReduceAlgorithmE0EfEvPT2_S3_
	.globl	_Z19reduce_array_kernelILj37ELj2ELN6hipcub20BlockReduceAlgorithmE0EfEvPT2_S3_
	.p2align	8
	.type	_Z19reduce_array_kernelILj37ELj2ELN6hipcub20BlockReduceAlgorithmE0EfEvPT2_S3_,@function
_Z19reduce_array_kernelILj37ELj2ELN6hipcub20BlockReduceAlgorithmE0EfEvPT2_S3_: ; @_Z19reduce_array_kernelILj37ELj2ELN6hipcub20BlockReduceAlgorithmE0EfEvPT2_S3_
; %bb.0:
	s_load_dwordx4 s[0:3], s[4:5], 0x0
	s_mul_i32 s4, s6, 37
	v_add_lshl_u32 v1, s4, v0, 1
	v_mov_b32_e32 v2, 0
	v_lshlrev_b64 v[3:4], 2, v[1:2]
	s_waitcnt lgkmcnt(0)
	v_mov_b32_e32 v1, s1
	v_add_co_u32_e32 v3, vcc, s0, v3
	v_addc_co_u32_e32 v4, vcc, v1, v4, vcc
	global_load_dwordx2 v[3:4], v[3:4], off
	v_mbcnt_lo_u32_b32 v1, -1, 0
	v_mbcnt_hi_u32_b32 v1, -1, v1
	v_cmp_gt_u32_e32 vcc, 64, v0
	v_and_b32_e32 v6, 63, v1
	v_cndmask_b32_e64 v5, 0, 37, vcc
	v_cmp_ne_u32_e32 vcc, 63, v6
	v_addc_co_u32_e32 v7, vcc, 0, v1, vcc
	v_lshlrev_b32_e32 v7, 2, v7
	v_cmp_gt_u32_e32 vcc, 62, v6
	v_cndmask_b32_e64 v8, 0, 2, vcc
	v_add_lshl_u32 v8, v8, v1, 2
	s_mov_b32 s7, 0
	s_waitcnt vmcnt(0)
	v_add_f32_e32 v3, v3, v4
	ds_bpermute_b32 v4, v7, v3
	v_add_u32_e32 v7, 1, v1
	v_cmp_lt_u32_e32 vcc, v7, v5
	v_add_u32_e32 v7, 2, v1
	s_waitcnt lgkmcnt(0)
	v_add_f32_e32 v4, v3, v4
	v_cndmask_b32_e32 v3, v3, v4, vcc
	ds_bpermute_b32 v4, v8, v3
	v_cmp_gt_u32_e32 vcc, 60, v6
	v_cndmask_b32_e64 v8, 0, 4, vcc
	v_cmp_lt_u32_e32 vcc, v7, v5
	v_add_lshl_u32 v8, v8, v1, 2
	s_waitcnt lgkmcnt(0)
	v_add_f32_e32 v4, v3, v4
	v_cndmask_b32_e32 v3, v3, v4, vcc
	ds_bpermute_b32 v4, v8, v3
	v_add_u32_e32 v7, 4, v1
	v_cmp_gt_u32_e32 vcc, 56, v6
	v_cndmask_b32_e64 v8, 0, 8, vcc
	v_cmp_lt_u32_e32 vcc, v7, v5
	s_waitcnt lgkmcnt(0)
	v_add_f32_e32 v4, v3, v4
	v_add_lshl_u32 v8, v8, v1, 2
	v_cndmask_b32_e32 v3, v3, v4, vcc
	ds_bpermute_b32 v4, v8, v3
	v_add_u32_e32 v7, 8, v1
	v_cmp_gt_u32_e32 vcc, 48, v6
	v_cndmask_b32_e64 v6, 0, 16, vcc
	v_cmp_lt_u32_e32 vcc, v7, v5
	s_waitcnt lgkmcnt(0)
	v_add_f32_e32 v4, v3, v4
	v_add_lshl_u32 v6, v6, v1, 2
	v_cndmask_b32_e32 v3, v3, v4, vcc
	ds_bpermute_b32 v4, v6, v3
	v_add_u32_e32 v7, 16, v1
	v_mov_b32_e32 v6, 0x80
	v_cmp_lt_u32_e32 vcc, v7, v5
	s_waitcnt lgkmcnt(0)
	v_add_f32_e32 v4, v3, v4
	v_cndmask_b32_e32 v3, v3, v4, vcc
	v_lshl_or_b32 v4, v1, 2, v6
	ds_bpermute_b32 v4, v4, v3
	v_cmp_eq_u32_e32 vcc, 0, v0
	s_and_saveexec_b64 s[0:1], vcc
	s_cbranch_execz .LBB98_2
; %bb.1:
	s_lshl_b64 s[0:1], s[6:7], 2
	v_add_u32_e32 v0, 32, v1
	s_add_u32 s0, s2, s0
	s_waitcnt lgkmcnt(0)
	v_add_f32_e32 v1, v3, v4
	v_cmp_gt_u32_e32 vcc, 37, v0
	s_addc_u32 s1, s3, s1
	v_cndmask_b32_e32 v0, v3, v1, vcc
	global_store_dword v2, v0, s[0:1]
.LBB98_2:
	s_endpgm
	.section	.rodata,"a",@progbits
	.p2align	6, 0x0
	.amdhsa_kernel _Z19reduce_array_kernelILj37ELj2ELN6hipcub20BlockReduceAlgorithmE0EfEvPT2_S3_
		.amdhsa_group_segment_fixed_size 0
		.amdhsa_private_segment_fixed_size 0
		.amdhsa_kernarg_size 16
		.amdhsa_user_sgpr_count 6
		.amdhsa_user_sgpr_private_segment_buffer 1
		.amdhsa_user_sgpr_dispatch_ptr 0
		.amdhsa_user_sgpr_queue_ptr 0
		.amdhsa_user_sgpr_kernarg_segment_ptr 1
		.amdhsa_user_sgpr_dispatch_id 0
		.amdhsa_user_sgpr_flat_scratch_init 0
		.amdhsa_user_sgpr_private_segment_size 0
		.amdhsa_uses_dynamic_stack 0
		.amdhsa_system_sgpr_private_segment_wavefront_offset 0
		.amdhsa_system_sgpr_workgroup_id_x 1
		.amdhsa_system_sgpr_workgroup_id_y 0
		.amdhsa_system_sgpr_workgroup_id_z 0
		.amdhsa_system_sgpr_workgroup_info 0
		.amdhsa_system_vgpr_workitem_id 0
		.amdhsa_next_free_vgpr 9
		.amdhsa_next_free_sgpr 8
		.amdhsa_reserve_vcc 1
		.amdhsa_reserve_flat_scratch 0
		.amdhsa_float_round_mode_32 0
		.amdhsa_float_round_mode_16_64 0
		.amdhsa_float_denorm_mode_32 3
		.amdhsa_float_denorm_mode_16_64 3
		.amdhsa_dx10_clamp 1
		.amdhsa_ieee_mode 1
		.amdhsa_fp16_overflow 0
		.amdhsa_exception_fp_ieee_invalid_op 0
		.amdhsa_exception_fp_denorm_src 0
		.amdhsa_exception_fp_ieee_div_zero 0
		.amdhsa_exception_fp_ieee_overflow 0
		.amdhsa_exception_fp_ieee_underflow 0
		.amdhsa_exception_fp_ieee_inexact 0
		.amdhsa_exception_int_div_zero 0
	.end_amdhsa_kernel
	.section	.text._Z19reduce_array_kernelILj37ELj2ELN6hipcub20BlockReduceAlgorithmE0EfEvPT2_S3_,"axG",@progbits,_Z19reduce_array_kernelILj37ELj2ELN6hipcub20BlockReduceAlgorithmE0EfEvPT2_S3_,comdat
.Lfunc_end98:
	.size	_Z19reduce_array_kernelILj37ELj2ELN6hipcub20BlockReduceAlgorithmE0EfEvPT2_S3_, .Lfunc_end98-_Z19reduce_array_kernelILj37ELj2ELN6hipcub20BlockReduceAlgorithmE0EfEvPT2_S3_
                                        ; -- End function
	.set _Z19reduce_array_kernelILj37ELj2ELN6hipcub20BlockReduceAlgorithmE0EfEvPT2_S3_.num_vgpr, 9
	.set _Z19reduce_array_kernelILj37ELj2ELN6hipcub20BlockReduceAlgorithmE0EfEvPT2_S3_.num_agpr, 0
	.set _Z19reduce_array_kernelILj37ELj2ELN6hipcub20BlockReduceAlgorithmE0EfEvPT2_S3_.numbered_sgpr, 8
	.set _Z19reduce_array_kernelILj37ELj2ELN6hipcub20BlockReduceAlgorithmE0EfEvPT2_S3_.num_named_barrier, 0
	.set _Z19reduce_array_kernelILj37ELj2ELN6hipcub20BlockReduceAlgorithmE0EfEvPT2_S3_.private_seg_size, 0
	.set _Z19reduce_array_kernelILj37ELj2ELN6hipcub20BlockReduceAlgorithmE0EfEvPT2_S3_.uses_vcc, 1
	.set _Z19reduce_array_kernelILj37ELj2ELN6hipcub20BlockReduceAlgorithmE0EfEvPT2_S3_.uses_flat_scratch, 0
	.set _Z19reduce_array_kernelILj37ELj2ELN6hipcub20BlockReduceAlgorithmE0EfEvPT2_S3_.has_dyn_sized_stack, 0
	.set _Z19reduce_array_kernelILj37ELj2ELN6hipcub20BlockReduceAlgorithmE0EfEvPT2_S3_.has_recursion, 0
	.set _Z19reduce_array_kernelILj37ELj2ELN6hipcub20BlockReduceAlgorithmE0EfEvPT2_S3_.has_indirect_call, 0
	.section	.AMDGPU.csdata,"",@progbits
; Kernel info:
; codeLenInByte = 412
; TotalNumSgprs: 12
; NumVgprs: 9
; ScratchSize: 0
; MemoryBound: 0
; FloatMode: 240
; IeeeMode: 1
; LDSByteSize: 0 bytes/workgroup (compile time only)
; SGPRBlocks: 1
; VGPRBlocks: 2
; NumSGPRsForWavesPerEU: 12
; NumVGPRsForWavesPerEU: 9
; Occupancy: 10
; WaveLimiterHint : 0
; COMPUTE_PGM_RSRC2:SCRATCH_EN: 0
; COMPUTE_PGM_RSRC2:USER_SGPR: 6
; COMPUTE_PGM_RSRC2:TRAP_HANDLER: 0
; COMPUTE_PGM_RSRC2:TGID_X_EN: 1
; COMPUTE_PGM_RSRC2:TGID_Y_EN: 0
; COMPUTE_PGM_RSRC2:TGID_Z_EN: 0
; COMPUTE_PGM_RSRC2:TIDIG_COMP_CNT: 0
	.section	.text._Z19reduce_array_kernelILj1024ELj1ELN6hipcub20BlockReduceAlgorithmE0EfEvPT2_S3_,"axG",@progbits,_Z19reduce_array_kernelILj1024ELj1ELN6hipcub20BlockReduceAlgorithmE0EfEvPT2_S3_,comdat
	.protected	_Z19reduce_array_kernelILj1024ELj1ELN6hipcub20BlockReduceAlgorithmE0EfEvPT2_S3_ ; -- Begin function _Z19reduce_array_kernelILj1024ELj1ELN6hipcub20BlockReduceAlgorithmE0EfEvPT2_S3_
	.globl	_Z19reduce_array_kernelILj1024ELj1ELN6hipcub20BlockReduceAlgorithmE0EfEvPT2_S3_
	.p2align	8
	.type	_Z19reduce_array_kernelILj1024ELj1ELN6hipcub20BlockReduceAlgorithmE0EfEvPT2_S3_,@function
_Z19reduce_array_kernelILj1024ELj1ELN6hipcub20BlockReduceAlgorithmE0EfEvPT2_S3_: ; @_Z19reduce_array_kernelILj1024ELj1ELN6hipcub20BlockReduceAlgorithmE0EfEvPT2_S3_
; %bb.0:
	s_load_dwordx4 s[0:3], s[4:5], 0x0
	v_lshl_or_b32 v1, s6, 10, v0
	v_mov_b32_e32 v2, 0
	v_lshlrev_b64 v[1:2], 2, v[1:2]
	s_waitcnt lgkmcnt(0)
	v_mov_b32_e32 v3, s1
	v_add_co_u32_e32 v1, vcc, s0, v1
	v_addc_co_u32_e32 v2, vcc, v3, v2, vcc
	global_load_dword v3, v[1:2], off
	v_mbcnt_lo_u32_b32 v1, -1, 0
	v_mbcnt_hi_u32_b32 v1, -1, v1
	v_lshlrev_b32_e32 v2, 2, v1
	v_cmp_eq_u32_e32 vcc, 0, v1
	s_waitcnt vmcnt(0)
	v_mov_b32_dpp v4, v3 quad_perm:[1,0,3,2] row_mask:0xf bank_mask:0xf
	v_add_f32_e32 v3, v3, v4
	s_nop 1
	v_mov_b32_dpp v4, v3 quad_perm:[2,3,0,1] row_mask:0xf bank_mask:0xf
	v_add_f32_e32 v3, v3, v4
	s_nop 1
	v_mov_b32_dpp v4, v3 row_ror:4 row_mask:0xf bank_mask:0xf
	v_add_f32_e32 v3, v3, v4
	s_nop 1
	v_mov_b32_dpp v4, v3 row_ror:8 row_mask:0xf bank_mask:0xf
	v_add_f32_e32 v3, v3, v4
	s_nop 1
	v_mov_b32_dpp v4, v3 row_bcast:15 row_mask:0xf bank_mask:0xf
	v_add_f32_e32 v3, v3, v4
	s_nop 1
	v_mov_b32_dpp v4, v3 row_bcast:31 row_mask:0xf bank_mask:0xf
	v_add_f32_e32 v3, v3, v4
	v_or_b32_e32 v4, 0xfc, v2
	ds_bpermute_b32 v3, v4, v3
	s_and_saveexec_b64 s[0:1], vcc
	s_cbranch_execz .LBB99_2
; %bb.1:
	v_lshrrev_b32_e32 v4, 4, v0
	v_and_b32_e32 v4, 60, v4
	s_waitcnt lgkmcnt(0)
	ds_write_b32 v4, v3
.LBB99_2:
	s_or_b64 exec, exec, s[0:1]
	v_cmp_gt_u32_e32 vcc, 64, v0
	s_waitcnt lgkmcnt(0)
	s_barrier
	s_and_saveexec_b64 s[0:1], vcc
	s_cbranch_execz .LBB99_4
; %bb.3:
	v_and_b32_e32 v3, 15, v1
	v_lshlrev_b32_e32 v4, 2, v3
	ds_read_b32 v4, v4
	v_cmp_ne_u32_e32 vcc, 15, v3
	v_addc_co_u32_e32 v5, vcc, 0, v1, vcc
	v_lshlrev_b32_e32 v5, 2, v5
	s_waitcnt lgkmcnt(0)
	ds_bpermute_b32 v5, v5, v4
	v_cmp_gt_u32_e32 vcc, 14, v3
	v_cndmask_b32_e64 v6, 0, 2, vcc
	v_add_lshl_u32 v6, v6, v1, 2
	v_cmp_gt_u32_e32 vcc, 12, v3
	s_waitcnt lgkmcnt(0)
	v_add_f32_e32 v4, v4, v5
	ds_bpermute_b32 v5, v6, v4
	v_cndmask_b32_e64 v3, 0, 4, vcc
	v_add_lshl_u32 v1, v3, v1, 2
	v_or_b32_e32 v2, 32, v2
	s_waitcnt lgkmcnt(0)
	v_add_f32_e32 v3, v4, v5
	ds_bpermute_b32 v1, v1, v3
	s_waitcnt lgkmcnt(0)
	v_add_f32_e32 v1, v3, v1
	ds_bpermute_b32 v2, v2, v1
	s_waitcnt lgkmcnt(0)
	v_add_f32_e32 v3, v1, v2
.LBB99_4:
	s_or_b64 exec, exec, s[0:1]
	s_mov_b32 s7, 0
	v_cmp_eq_u32_e32 vcc, 0, v0
	s_and_saveexec_b64 s[0:1], vcc
	s_cbranch_execz .LBB99_6
; %bb.5:
	s_lshl_b64 s[0:1], s[6:7], 2
	s_add_u32 s0, s2, s0
	s_addc_u32 s1, s3, s1
	v_mov_b32_e32 v0, 0
	global_store_dword v0, v3, s[0:1]
.LBB99_6:
	s_endpgm
	.section	.rodata,"a",@progbits
	.p2align	6, 0x0
	.amdhsa_kernel _Z19reduce_array_kernelILj1024ELj1ELN6hipcub20BlockReduceAlgorithmE0EfEvPT2_S3_
		.amdhsa_group_segment_fixed_size 64
		.amdhsa_private_segment_fixed_size 0
		.amdhsa_kernarg_size 16
		.amdhsa_user_sgpr_count 6
		.amdhsa_user_sgpr_private_segment_buffer 1
		.amdhsa_user_sgpr_dispatch_ptr 0
		.amdhsa_user_sgpr_queue_ptr 0
		.amdhsa_user_sgpr_kernarg_segment_ptr 1
		.amdhsa_user_sgpr_dispatch_id 0
		.amdhsa_user_sgpr_flat_scratch_init 0
		.amdhsa_user_sgpr_private_segment_size 0
		.amdhsa_uses_dynamic_stack 0
		.amdhsa_system_sgpr_private_segment_wavefront_offset 0
		.amdhsa_system_sgpr_workgroup_id_x 1
		.amdhsa_system_sgpr_workgroup_id_y 0
		.amdhsa_system_sgpr_workgroup_id_z 0
		.amdhsa_system_sgpr_workgroup_info 0
		.amdhsa_system_vgpr_workitem_id 0
		.amdhsa_next_free_vgpr 7
		.amdhsa_next_free_sgpr 8
		.amdhsa_reserve_vcc 1
		.amdhsa_reserve_flat_scratch 0
		.amdhsa_float_round_mode_32 0
		.amdhsa_float_round_mode_16_64 0
		.amdhsa_float_denorm_mode_32 3
		.amdhsa_float_denorm_mode_16_64 3
		.amdhsa_dx10_clamp 1
		.amdhsa_ieee_mode 1
		.amdhsa_fp16_overflow 0
		.amdhsa_exception_fp_ieee_invalid_op 0
		.amdhsa_exception_fp_denorm_src 0
		.amdhsa_exception_fp_ieee_div_zero 0
		.amdhsa_exception_fp_ieee_overflow 0
		.amdhsa_exception_fp_ieee_underflow 0
		.amdhsa_exception_fp_ieee_inexact 0
		.amdhsa_exception_int_div_zero 0
	.end_amdhsa_kernel
	.section	.text._Z19reduce_array_kernelILj1024ELj1ELN6hipcub20BlockReduceAlgorithmE0EfEvPT2_S3_,"axG",@progbits,_Z19reduce_array_kernelILj1024ELj1ELN6hipcub20BlockReduceAlgorithmE0EfEvPT2_S3_,comdat
.Lfunc_end99:
	.size	_Z19reduce_array_kernelILj1024ELj1ELN6hipcub20BlockReduceAlgorithmE0EfEvPT2_S3_, .Lfunc_end99-_Z19reduce_array_kernelILj1024ELj1ELN6hipcub20BlockReduceAlgorithmE0EfEvPT2_S3_
                                        ; -- End function
	.set _Z19reduce_array_kernelILj1024ELj1ELN6hipcub20BlockReduceAlgorithmE0EfEvPT2_S3_.num_vgpr, 7
	.set _Z19reduce_array_kernelILj1024ELj1ELN6hipcub20BlockReduceAlgorithmE0EfEvPT2_S3_.num_agpr, 0
	.set _Z19reduce_array_kernelILj1024ELj1ELN6hipcub20BlockReduceAlgorithmE0EfEvPT2_S3_.numbered_sgpr, 8
	.set _Z19reduce_array_kernelILj1024ELj1ELN6hipcub20BlockReduceAlgorithmE0EfEvPT2_S3_.num_named_barrier, 0
	.set _Z19reduce_array_kernelILj1024ELj1ELN6hipcub20BlockReduceAlgorithmE0EfEvPT2_S3_.private_seg_size, 0
	.set _Z19reduce_array_kernelILj1024ELj1ELN6hipcub20BlockReduceAlgorithmE0EfEvPT2_S3_.uses_vcc, 1
	.set _Z19reduce_array_kernelILj1024ELj1ELN6hipcub20BlockReduceAlgorithmE0EfEvPT2_S3_.uses_flat_scratch, 0
	.set _Z19reduce_array_kernelILj1024ELj1ELN6hipcub20BlockReduceAlgorithmE0EfEvPT2_S3_.has_dyn_sized_stack, 0
	.set _Z19reduce_array_kernelILj1024ELj1ELN6hipcub20BlockReduceAlgorithmE0EfEvPT2_S3_.has_recursion, 0
	.set _Z19reduce_array_kernelILj1024ELj1ELN6hipcub20BlockReduceAlgorithmE0EfEvPT2_S3_.has_indirect_call, 0
	.section	.AMDGPU.csdata,"",@progbits
; Kernel info:
; codeLenInByte = 428
; TotalNumSgprs: 12
; NumVgprs: 7
; ScratchSize: 0
; MemoryBound: 0
; FloatMode: 240
; IeeeMode: 1
; LDSByteSize: 64 bytes/workgroup (compile time only)
; SGPRBlocks: 1
; VGPRBlocks: 1
; NumSGPRsForWavesPerEU: 12
; NumVGPRsForWavesPerEU: 7
; Occupancy: 10
; WaveLimiterHint : 0
; COMPUTE_PGM_RSRC2:SCRATCH_EN: 0
; COMPUTE_PGM_RSRC2:USER_SGPR: 6
; COMPUTE_PGM_RSRC2:TRAP_HANDLER: 0
; COMPUTE_PGM_RSRC2:TGID_X_EN: 1
; COMPUTE_PGM_RSRC2:TGID_Y_EN: 0
; COMPUTE_PGM_RSRC2:TGID_Z_EN: 0
; COMPUTE_PGM_RSRC2:TIDIG_COMP_CNT: 0
	.section	.text._Z19reduce_array_kernelILj512ELj4ELN6hipcub20BlockReduceAlgorithmE0EiEvPT2_S3_,"axG",@progbits,_Z19reduce_array_kernelILj512ELj4ELN6hipcub20BlockReduceAlgorithmE0EiEvPT2_S3_,comdat
	.protected	_Z19reduce_array_kernelILj512ELj4ELN6hipcub20BlockReduceAlgorithmE0EiEvPT2_S3_ ; -- Begin function _Z19reduce_array_kernelILj512ELj4ELN6hipcub20BlockReduceAlgorithmE0EiEvPT2_S3_
	.globl	_Z19reduce_array_kernelILj512ELj4ELN6hipcub20BlockReduceAlgorithmE0EiEvPT2_S3_
	.p2align	8
	.type	_Z19reduce_array_kernelILj512ELj4ELN6hipcub20BlockReduceAlgorithmE0EiEvPT2_S3_,@function
_Z19reduce_array_kernelILj512ELj4ELN6hipcub20BlockReduceAlgorithmE0EiEvPT2_S3_: ; @_Z19reduce_array_kernelILj512ELj4ELN6hipcub20BlockReduceAlgorithmE0EiEvPT2_S3_
; %bb.0:
	s_load_dwordx4 s[0:3], s[4:5], 0x0
	v_lshlrev_b32_e32 v1, 2, v0
	v_lshl_or_b32 v1, s6, 11, v1
	v_mov_b32_e32 v2, 0
	v_lshlrev_b64 v[1:2], 2, v[1:2]
	s_waitcnt lgkmcnt(0)
	v_mov_b32_e32 v3, s1
	v_add_co_u32_e32 v1, vcc, s0, v1
	v_addc_co_u32_e32 v2, vcc, v3, v2, vcc
	global_load_dwordx4 v[3:6], v[1:2], off
	v_mbcnt_lo_u32_b32 v1, -1, 0
	v_mbcnt_hi_u32_b32 v1, -1, v1
	v_lshlrev_b32_e32 v2, 2, v1
	v_cmp_eq_u32_e32 vcc, 0, v1
	s_waitcnt vmcnt(0)
	v_add_u32_e32 v3, v4, v3
	v_add3_u32 v3, v3, v5, v6
	s_nop 1
	v_mov_b32_dpp v4, v3 quad_perm:[1,0,3,2] row_mask:0xf bank_mask:0xf
	v_add_u32_e32 v3, v4, v3
	s_nop 1
	v_mov_b32_dpp v4, v3 quad_perm:[2,3,0,1] row_mask:0xf bank_mask:0xf
	v_add_u32_e32 v3, v3, v4
	s_nop 1
	v_mov_b32_dpp v4, v3 row_ror:4 row_mask:0xf bank_mask:0xf
	v_add_u32_e32 v3, v3, v4
	s_nop 1
	v_mov_b32_dpp v4, v3 row_ror:8 row_mask:0xf bank_mask:0xf
	v_add_u32_e32 v3, v3, v4
	s_nop 1
	v_mov_b32_dpp v4, v3 row_bcast:15 row_mask:0xf bank_mask:0xf
	v_add_u32_e32 v3, v3, v4
	s_nop 1
	v_mov_b32_dpp v4, v3 row_bcast:31 row_mask:0xf bank_mask:0xf
	v_add_u32_e32 v3, v3, v4
	v_or_b32_e32 v4, 0xfc, v2
	ds_bpermute_b32 v3, v4, v3
	s_and_saveexec_b64 s[0:1], vcc
	s_cbranch_execz .LBB100_2
; %bb.1:
	v_lshrrev_b32_e32 v4, 4, v0
	v_and_b32_e32 v4, 28, v4
	s_waitcnt lgkmcnt(0)
	ds_write_b32 v4, v3
.LBB100_2:
	s_or_b64 exec, exec, s[0:1]
	v_cmp_gt_u32_e32 vcc, 64, v0
	s_waitcnt lgkmcnt(0)
	s_barrier
	s_and_saveexec_b64 s[0:1], vcc
	s_cbranch_execz .LBB100_4
; %bb.3:
	v_and_b32_e32 v3, 7, v1
	v_lshlrev_b32_e32 v4, 2, v3
	ds_read_b32 v4, v4
	v_cmp_ne_u32_e32 vcc, 7, v3
	v_addc_co_u32_e32 v5, vcc, 0, v1, vcc
	v_lshlrev_b32_e32 v5, 2, v5
	s_waitcnt lgkmcnt(0)
	ds_bpermute_b32 v5, v5, v4
	v_cmp_gt_u32_e32 vcc, 6, v3
	v_cndmask_b32_e64 v3, 0, 2, vcc
	v_add_lshl_u32 v1, v3, v1, 2
	v_or_b32_e32 v2, 16, v2
	s_waitcnt lgkmcnt(0)
	v_add_u32_e32 v3, v5, v4
	ds_bpermute_b32 v1, v1, v3
	s_waitcnt lgkmcnt(0)
	v_add_u32_e32 v1, v1, v3
	ds_bpermute_b32 v2, v2, v1
	s_waitcnt lgkmcnt(0)
	v_add_u32_e32 v3, v2, v1
.LBB100_4:
	s_or_b64 exec, exec, s[0:1]
	s_mov_b32 s7, 0
	v_cmp_eq_u32_e32 vcc, 0, v0
	s_and_saveexec_b64 s[0:1], vcc
	s_cbranch_execz .LBB100_6
; %bb.5:
	s_lshl_b64 s[0:1], s[6:7], 2
	s_add_u32 s0, s2, s0
	s_addc_u32 s1, s3, s1
	v_mov_b32_e32 v0, 0
	global_store_dword v0, v3, s[0:1]
.LBB100_6:
	s_endpgm
	.section	.rodata,"a",@progbits
	.p2align	6, 0x0
	.amdhsa_kernel _Z19reduce_array_kernelILj512ELj4ELN6hipcub20BlockReduceAlgorithmE0EiEvPT2_S3_
		.amdhsa_group_segment_fixed_size 32
		.amdhsa_private_segment_fixed_size 0
		.amdhsa_kernarg_size 16
		.amdhsa_user_sgpr_count 6
		.amdhsa_user_sgpr_private_segment_buffer 1
		.amdhsa_user_sgpr_dispatch_ptr 0
		.amdhsa_user_sgpr_queue_ptr 0
		.amdhsa_user_sgpr_kernarg_segment_ptr 1
		.amdhsa_user_sgpr_dispatch_id 0
		.amdhsa_user_sgpr_flat_scratch_init 0
		.amdhsa_user_sgpr_private_segment_size 0
		.amdhsa_uses_dynamic_stack 0
		.amdhsa_system_sgpr_private_segment_wavefront_offset 0
		.amdhsa_system_sgpr_workgroup_id_x 1
		.amdhsa_system_sgpr_workgroup_id_y 0
		.amdhsa_system_sgpr_workgroup_id_z 0
		.amdhsa_system_sgpr_workgroup_info 0
		.amdhsa_system_vgpr_workitem_id 0
		.amdhsa_next_free_vgpr 7
		.amdhsa_next_free_sgpr 8
		.amdhsa_reserve_vcc 1
		.amdhsa_reserve_flat_scratch 0
		.amdhsa_float_round_mode_32 0
		.amdhsa_float_round_mode_16_64 0
		.amdhsa_float_denorm_mode_32 3
		.amdhsa_float_denorm_mode_16_64 3
		.amdhsa_dx10_clamp 1
		.amdhsa_ieee_mode 1
		.amdhsa_fp16_overflow 0
		.amdhsa_exception_fp_ieee_invalid_op 0
		.amdhsa_exception_fp_denorm_src 0
		.amdhsa_exception_fp_ieee_div_zero 0
		.amdhsa_exception_fp_ieee_overflow 0
		.amdhsa_exception_fp_ieee_underflow 0
		.amdhsa_exception_fp_ieee_inexact 0
		.amdhsa_exception_int_div_zero 0
	.end_amdhsa_kernel
	.section	.text._Z19reduce_array_kernelILj512ELj4ELN6hipcub20BlockReduceAlgorithmE0EiEvPT2_S3_,"axG",@progbits,_Z19reduce_array_kernelILj512ELj4ELN6hipcub20BlockReduceAlgorithmE0EiEvPT2_S3_,comdat
.Lfunc_end100:
	.size	_Z19reduce_array_kernelILj512ELj4ELN6hipcub20BlockReduceAlgorithmE0EiEvPT2_S3_, .Lfunc_end100-_Z19reduce_array_kernelILj512ELj4ELN6hipcub20BlockReduceAlgorithmE0EiEvPT2_S3_
                                        ; -- End function
	.set _Z19reduce_array_kernelILj512ELj4ELN6hipcub20BlockReduceAlgorithmE0EiEvPT2_S3_.num_vgpr, 7
	.set _Z19reduce_array_kernelILj512ELj4ELN6hipcub20BlockReduceAlgorithmE0EiEvPT2_S3_.num_agpr, 0
	.set _Z19reduce_array_kernelILj512ELj4ELN6hipcub20BlockReduceAlgorithmE0EiEvPT2_S3_.numbered_sgpr, 8
	.set _Z19reduce_array_kernelILj512ELj4ELN6hipcub20BlockReduceAlgorithmE0EiEvPT2_S3_.num_named_barrier, 0
	.set _Z19reduce_array_kernelILj512ELj4ELN6hipcub20BlockReduceAlgorithmE0EiEvPT2_S3_.private_seg_size, 0
	.set _Z19reduce_array_kernelILj512ELj4ELN6hipcub20BlockReduceAlgorithmE0EiEvPT2_S3_.uses_vcc, 1
	.set _Z19reduce_array_kernelILj512ELj4ELN6hipcub20BlockReduceAlgorithmE0EiEvPT2_S3_.uses_flat_scratch, 0
	.set _Z19reduce_array_kernelILj512ELj4ELN6hipcub20BlockReduceAlgorithmE0EiEvPT2_S3_.has_dyn_sized_stack, 0
	.set _Z19reduce_array_kernelILj512ELj4ELN6hipcub20BlockReduceAlgorithmE0EiEvPT2_S3_.has_recursion, 0
	.set _Z19reduce_array_kernelILj512ELj4ELN6hipcub20BlockReduceAlgorithmE0EiEvPT2_S3_.has_indirect_call, 0
	.section	.AMDGPU.csdata,"",@progbits
; Kernel info:
; codeLenInByte = 412
; TotalNumSgprs: 12
; NumVgprs: 7
; ScratchSize: 0
; MemoryBound: 0
; FloatMode: 240
; IeeeMode: 1
; LDSByteSize: 32 bytes/workgroup (compile time only)
; SGPRBlocks: 1
; VGPRBlocks: 1
; NumSGPRsForWavesPerEU: 12
; NumVGPRsForWavesPerEU: 7
; Occupancy: 10
; WaveLimiterHint : 0
; COMPUTE_PGM_RSRC2:SCRATCH_EN: 0
; COMPUTE_PGM_RSRC2:USER_SGPR: 6
; COMPUTE_PGM_RSRC2:TRAP_HANDLER: 0
; COMPUTE_PGM_RSRC2:TGID_X_EN: 1
; COMPUTE_PGM_RSRC2:TGID_Y_EN: 0
; COMPUTE_PGM_RSRC2:TGID_Z_EN: 0
; COMPUTE_PGM_RSRC2:TIDIG_COMP_CNT: 0
	.section	.text._Z19reduce_array_kernelILj256ELj3ELN6hipcub20BlockReduceAlgorithmE0EjEvPT2_S3_,"axG",@progbits,_Z19reduce_array_kernelILj256ELj3ELN6hipcub20BlockReduceAlgorithmE0EjEvPT2_S3_,comdat
	.protected	_Z19reduce_array_kernelILj256ELj3ELN6hipcub20BlockReduceAlgorithmE0EjEvPT2_S3_ ; -- Begin function _Z19reduce_array_kernelILj256ELj3ELN6hipcub20BlockReduceAlgorithmE0EjEvPT2_S3_
	.globl	_Z19reduce_array_kernelILj256ELj3ELN6hipcub20BlockReduceAlgorithmE0EjEvPT2_S3_
	.p2align	8
	.type	_Z19reduce_array_kernelILj256ELj3ELN6hipcub20BlockReduceAlgorithmE0EjEvPT2_S3_,@function
_Z19reduce_array_kernelILj256ELj3ELN6hipcub20BlockReduceAlgorithmE0EjEvPT2_S3_: ; @_Z19reduce_array_kernelILj256ELj3ELN6hipcub20BlockReduceAlgorithmE0EjEvPT2_S3_
; %bb.0:
	s_load_dwordx4 s[0:3], s[4:5], 0x0
	v_lshl_or_b32 v1, s6, 8, v0
	v_lshl_add_u32 v1, v1, 1, v1
	v_mov_b32_e32 v2, 0
	v_lshlrev_b64 v[3:4], 2, v[1:2]
	s_waitcnt lgkmcnt(0)
	v_mov_b32_e32 v5, s1
	v_add_co_u32_e32 v3, vcc, s0, v3
	v_addc_co_u32_e32 v4, vcc, v5, v4, vcc
	v_add_u32_e32 v5, 1, v1
	v_mov_b32_e32 v6, v2
	v_lshlrev_b64 v[5:6], 2, v[5:6]
	v_add_u32_e32 v1, 2, v1
	v_mov_b32_e32 v7, s1
	v_add_co_u32_e32 v5, vcc, s0, v5
	v_lshlrev_b64 v[1:2], 2, v[1:2]
	v_addc_co_u32_e32 v6, vcc, v7, v6, vcc
	v_add_co_u32_e32 v1, vcc, s0, v1
	v_addc_co_u32_e32 v2, vcc, v7, v2, vcc
	global_load_dword v7, v[3:4], off
	global_load_dword v8, v[5:6], off
	;; [unrolled: 1-line block ×3, first 2 shown]
	v_mbcnt_lo_u32_b32 v1, -1, 0
	v_mbcnt_hi_u32_b32 v1, -1, v1
	v_lshlrev_b32_e32 v2, 2, v1
	v_cmp_eq_u32_e32 vcc, 0, v1
	s_waitcnt vmcnt(0)
	v_add3_u32 v3, v8, v7, v9
	s_nop 1
	v_mov_b32_dpp v4, v3 quad_perm:[1,0,3,2] row_mask:0xf bank_mask:0xf
	v_add_u32_e32 v3, v4, v3
	s_nop 1
	v_mov_b32_dpp v4, v3 quad_perm:[2,3,0,1] row_mask:0xf bank_mask:0xf
	v_add_u32_e32 v3, v3, v4
	s_nop 1
	v_mov_b32_dpp v4, v3 row_ror:4 row_mask:0xf bank_mask:0xf
	v_add_u32_e32 v3, v3, v4
	s_nop 1
	v_mov_b32_dpp v4, v3 row_ror:8 row_mask:0xf bank_mask:0xf
	v_add_u32_e32 v3, v3, v4
	s_nop 1
	v_mov_b32_dpp v4, v3 row_bcast:15 row_mask:0xf bank_mask:0xf
	v_add_u32_e32 v3, v3, v4
	s_nop 1
	v_mov_b32_dpp v4, v3 row_bcast:31 row_mask:0xf bank_mask:0xf
	v_add_u32_e32 v3, v3, v4
	v_or_b32_e32 v4, 0xfc, v2
	ds_bpermute_b32 v3, v4, v3
	s_and_saveexec_b64 s[0:1], vcc
	s_cbranch_execz .LBB101_2
; %bb.1:
	v_lshrrev_b32_e32 v4, 4, v0
	v_and_b32_e32 v4, 12, v4
	s_waitcnt lgkmcnt(0)
	ds_write_b32 v4, v3
.LBB101_2:
	s_or_b64 exec, exec, s[0:1]
	v_cmp_gt_u32_e32 vcc, 64, v0
	s_waitcnt lgkmcnt(0)
	s_barrier
	s_and_saveexec_b64 s[0:1], vcc
	s_cbranch_execz .LBB101_4
; %bb.3:
	v_and_b32_e32 v3, 3, v1
	v_lshlrev_b32_e32 v4, 2, v3
	ds_read_b32 v4, v4
	v_cmp_ne_u32_e32 vcc, 3, v3
	v_addc_co_u32_e32 v1, vcc, 0, v1, vcc
	v_lshlrev_b32_e32 v1, 2, v1
	s_waitcnt lgkmcnt(0)
	ds_bpermute_b32 v1, v1, v4
	v_or_b32_e32 v2, 8, v2
	s_waitcnt lgkmcnt(0)
	v_add_u32_e32 v1, v1, v4
	ds_bpermute_b32 v2, v2, v1
	s_waitcnt lgkmcnt(0)
	v_add_u32_e32 v3, v2, v1
.LBB101_4:
	s_or_b64 exec, exec, s[0:1]
	s_mov_b32 s7, 0
	v_cmp_eq_u32_e32 vcc, 0, v0
	s_and_saveexec_b64 s[0:1], vcc
	s_cbranch_execz .LBB101_6
; %bb.5:
	s_lshl_b64 s[0:1], s[6:7], 2
	s_add_u32 s0, s2, s0
	s_addc_u32 s1, s3, s1
	v_mov_b32_e32 v0, 0
	global_store_dword v0, v3, s[0:1]
.LBB101_6:
	s_endpgm
	.section	.rodata,"a",@progbits
	.p2align	6, 0x0
	.amdhsa_kernel _Z19reduce_array_kernelILj256ELj3ELN6hipcub20BlockReduceAlgorithmE0EjEvPT2_S3_
		.amdhsa_group_segment_fixed_size 16
		.amdhsa_private_segment_fixed_size 0
		.amdhsa_kernarg_size 16
		.amdhsa_user_sgpr_count 6
		.amdhsa_user_sgpr_private_segment_buffer 1
		.amdhsa_user_sgpr_dispatch_ptr 0
		.amdhsa_user_sgpr_queue_ptr 0
		.amdhsa_user_sgpr_kernarg_segment_ptr 1
		.amdhsa_user_sgpr_dispatch_id 0
		.amdhsa_user_sgpr_flat_scratch_init 0
		.amdhsa_user_sgpr_private_segment_size 0
		.amdhsa_uses_dynamic_stack 0
		.amdhsa_system_sgpr_private_segment_wavefront_offset 0
		.amdhsa_system_sgpr_workgroup_id_x 1
		.amdhsa_system_sgpr_workgroup_id_y 0
		.amdhsa_system_sgpr_workgroup_id_z 0
		.amdhsa_system_sgpr_workgroup_info 0
		.amdhsa_system_vgpr_workitem_id 0
		.amdhsa_next_free_vgpr 10
		.amdhsa_next_free_sgpr 8
		.amdhsa_reserve_vcc 1
		.amdhsa_reserve_flat_scratch 0
		.amdhsa_float_round_mode_32 0
		.amdhsa_float_round_mode_16_64 0
		.amdhsa_float_denorm_mode_32 3
		.amdhsa_float_denorm_mode_16_64 3
		.amdhsa_dx10_clamp 1
		.amdhsa_ieee_mode 1
		.amdhsa_fp16_overflow 0
		.amdhsa_exception_fp_ieee_invalid_op 0
		.amdhsa_exception_fp_denorm_src 0
		.amdhsa_exception_fp_ieee_div_zero 0
		.amdhsa_exception_fp_ieee_overflow 0
		.amdhsa_exception_fp_ieee_underflow 0
		.amdhsa_exception_fp_ieee_inexact 0
		.amdhsa_exception_int_div_zero 0
	.end_amdhsa_kernel
	.section	.text._Z19reduce_array_kernelILj256ELj3ELN6hipcub20BlockReduceAlgorithmE0EjEvPT2_S3_,"axG",@progbits,_Z19reduce_array_kernelILj256ELj3ELN6hipcub20BlockReduceAlgorithmE0EjEvPT2_S3_,comdat
.Lfunc_end101:
	.size	_Z19reduce_array_kernelILj256ELj3ELN6hipcub20BlockReduceAlgorithmE0EjEvPT2_S3_, .Lfunc_end101-_Z19reduce_array_kernelILj256ELj3ELN6hipcub20BlockReduceAlgorithmE0EjEvPT2_S3_
                                        ; -- End function
	.set _Z19reduce_array_kernelILj256ELj3ELN6hipcub20BlockReduceAlgorithmE0EjEvPT2_S3_.num_vgpr, 10
	.set _Z19reduce_array_kernelILj256ELj3ELN6hipcub20BlockReduceAlgorithmE0EjEvPT2_S3_.num_agpr, 0
	.set _Z19reduce_array_kernelILj256ELj3ELN6hipcub20BlockReduceAlgorithmE0EjEvPT2_S3_.numbered_sgpr, 8
	.set _Z19reduce_array_kernelILj256ELj3ELN6hipcub20BlockReduceAlgorithmE0EjEvPT2_S3_.num_named_barrier, 0
	.set _Z19reduce_array_kernelILj256ELj3ELN6hipcub20BlockReduceAlgorithmE0EjEvPT2_S3_.private_seg_size, 0
	.set _Z19reduce_array_kernelILj256ELj3ELN6hipcub20BlockReduceAlgorithmE0EjEvPT2_S3_.uses_vcc, 1
	.set _Z19reduce_array_kernelILj256ELj3ELN6hipcub20BlockReduceAlgorithmE0EjEvPT2_S3_.uses_flat_scratch, 0
	.set _Z19reduce_array_kernelILj256ELj3ELN6hipcub20BlockReduceAlgorithmE0EjEvPT2_S3_.has_dyn_sized_stack, 0
	.set _Z19reduce_array_kernelILj256ELj3ELN6hipcub20BlockReduceAlgorithmE0EjEvPT2_S3_.has_recursion, 0
	.set _Z19reduce_array_kernelILj256ELj3ELN6hipcub20BlockReduceAlgorithmE0EjEvPT2_S3_.has_indirect_call, 0
	.section	.AMDGPU.csdata,"",@progbits
; Kernel info:
; codeLenInByte = 440
; TotalNumSgprs: 12
; NumVgprs: 10
; ScratchSize: 0
; MemoryBound: 0
; FloatMode: 240
; IeeeMode: 1
; LDSByteSize: 16 bytes/workgroup (compile time only)
; SGPRBlocks: 1
; VGPRBlocks: 2
; NumSGPRsForWavesPerEU: 12
; NumVGPRsForWavesPerEU: 10
; Occupancy: 10
; WaveLimiterHint : 0
; COMPUTE_PGM_RSRC2:SCRATCH_EN: 0
; COMPUTE_PGM_RSRC2:USER_SGPR: 6
; COMPUTE_PGM_RSRC2:TRAP_HANDLER: 0
; COMPUTE_PGM_RSRC2:TGID_X_EN: 1
; COMPUTE_PGM_RSRC2:TGID_Y_EN: 0
; COMPUTE_PGM_RSRC2:TGID_Z_EN: 0
; COMPUTE_PGM_RSRC2:TIDIG_COMP_CNT: 0
	.section	.text._Z19reduce_array_kernelILj32ELj2ELN6hipcub20BlockReduceAlgorithmE0EfEvPT2_S3_,"axG",@progbits,_Z19reduce_array_kernelILj32ELj2ELN6hipcub20BlockReduceAlgorithmE0EfEvPT2_S3_,comdat
	.protected	_Z19reduce_array_kernelILj32ELj2ELN6hipcub20BlockReduceAlgorithmE0EfEvPT2_S3_ ; -- Begin function _Z19reduce_array_kernelILj32ELj2ELN6hipcub20BlockReduceAlgorithmE0EfEvPT2_S3_
	.globl	_Z19reduce_array_kernelILj32ELj2ELN6hipcub20BlockReduceAlgorithmE0EfEvPT2_S3_
	.p2align	8
	.type	_Z19reduce_array_kernelILj32ELj2ELN6hipcub20BlockReduceAlgorithmE0EfEvPT2_S3_,@function
_Z19reduce_array_kernelILj32ELj2ELN6hipcub20BlockReduceAlgorithmE0EfEvPT2_S3_: ; @_Z19reduce_array_kernelILj32ELj2ELN6hipcub20BlockReduceAlgorithmE0EfEvPT2_S3_
; %bb.0:
	s_load_dwordx4 s[0:3], s[4:5], 0x0
	v_lshlrev_b32_e32 v1, 1, v0
	v_lshl_or_b32 v1, s6, 6, v1
	v_mov_b32_e32 v2, 0
	v_lshlrev_b64 v[3:4], 2, v[1:2]
	s_waitcnt lgkmcnt(0)
	v_mov_b32_e32 v1, s1
	v_add_co_u32_e32 v3, vcc, s0, v3
	v_addc_co_u32_e32 v4, vcc, v1, v4, vcc
	global_load_dwordx2 v[3:4], v[3:4], off
	v_mbcnt_lo_u32_b32 v1, -1, 0
	v_mbcnt_hi_u32_b32 v5, -1, v1
	v_and_b32_e32 v1, 31, v5
	v_cmp_ne_u32_e32 vcc, 31, v1
	v_addc_co_u32_e32 v6, vcc, 0, v5, vcc
	v_lshlrev_b32_e32 v6, 2, v6
	v_cmp_gt_u32_e32 vcc, 30, v1
	s_mov_b32 s7, 0
	s_waitcnt vmcnt(0)
	v_add_f32_e32 v3, v3, v4
	ds_bpermute_b32 v4, v6, v3
	v_cndmask_b32_e64 v6, 0, 2, vcc
	v_add_lshl_u32 v6, v6, v5, 2
	v_cmp_gt_u32_e32 vcc, 28, v1
	s_waitcnt lgkmcnt(0)
	v_add_f32_e32 v3, v3, v4
	ds_bpermute_b32 v4, v6, v3
	v_cndmask_b32_e64 v6, 0, 4, vcc
	v_add_lshl_u32 v6, v6, v5, 2
	v_cmp_gt_u32_e32 vcc, 24, v1
	v_cndmask_b32_e64 v1, 0, 8, vcc
	s_waitcnt lgkmcnt(0)
	v_add_f32_e32 v3, v3, v4
	ds_bpermute_b32 v4, v6, v3
	v_add_lshl_u32 v1, v1, v5, 2
	v_cmp_eq_u32_e32 vcc, 0, v0
	s_waitcnt lgkmcnt(0)
	v_add_f32_e32 v3, v3, v4
	ds_bpermute_b32 v1, v1, v3
	s_waitcnt lgkmcnt(0)
	v_add_f32_e32 v1, v3, v1
	v_lshl_or_b32 v3, v5, 2, 64
	ds_bpermute_b32 v3, v3, v1
	s_and_saveexec_b64 s[0:1], vcc
	s_cbranch_execz .LBB102_2
; %bb.1:
	s_lshl_b64 s[0:1], s[6:7], 2
	s_add_u32 s0, s2, s0
	s_addc_u32 s1, s3, s1
	s_waitcnt lgkmcnt(0)
	v_add_f32_e32 v0, v1, v3
	global_store_dword v2, v0, s[0:1]
.LBB102_2:
	s_endpgm
	.section	.rodata,"a",@progbits
	.p2align	6, 0x0
	.amdhsa_kernel _Z19reduce_array_kernelILj32ELj2ELN6hipcub20BlockReduceAlgorithmE0EfEvPT2_S3_
		.amdhsa_group_segment_fixed_size 0
		.amdhsa_private_segment_fixed_size 0
		.amdhsa_kernarg_size 16
		.amdhsa_user_sgpr_count 6
		.amdhsa_user_sgpr_private_segment_buffer 1
		.amdhsa_user_sgpr_dispatch_ptr 0
		.amdhsa_user_sgpr_queue_ptr 0
		.amdhsa_user_sgpr_kernarg_segment_ptr 1
		.amdhsa_user_sgpr_dispatch_id 0
		.amdhsa_user_sgpr_flat_scratch_init 0
		.amdhsa_user_sgpr_private_segment_size 0
		.amdhsa_uses_dynamic_stack 0
		.amdhsa_system_sgpr_private_segment_wavefront_offset 0
		.amdhsa_system_sgpr_workgroup_id_x 1
		.amdhsa_system_sgpr_workgroup_id_y 0
		.amdhsa_system_sgpr_workgroup_id_z 0
		.amdhsa_system_sgpr_workgroup_info 0
		.amdhsa_system_vgpr_workitem_id 0
		.amdhsa_next_free_vgpr 7
		.amdhsa_next_free_sgpr 8
		.amdhsa_reserve_vcc 1
		.amdhsa_reserve_flat_scratch 0
		.amdhsa_float_round_mode_32 0
		.amdhsa_float_round_mode_16_64 0
		.amdhsa_float_denorm_mode_32 3
		.amdhsa_float_denorm_mode_16_64 3
		.amdhsa_dx10_clamp 1
		.amdhsa_ieee_mode 1
		.amdhsa_fp16_overflow 0
		.amdhsa_exception_fp_ieee_invalid_op 0
		.amdhsa_exception_fp_denorm_src 0
		.amdhsa_exception_fp_ieee_div_zero 0
		.amdhsa_exception_fp_ieee_overflow 0
		.amdhsa_exception_fp_ieee_underflow 0
		.amdhsa_exception_fp_ieee_inexact 0
		.amdhsa_exception_int_div_zero 0
	.end_amdhsa_kernel
	.section	.text._Z19reduce_array_kernelILj32ELj2ELN6hipcub20BlockReduceAlgorithmE0EfEvPT2_S3_,"axG",@progbits,_Z19reduce_array_kernelILj32ELj2ELN6hipcub20BlockReduceAlgorithmE0EfEvPT2_S3_,comdat
.Lfunc_end102:
	.size	_Z19reduce_array_kernelILj32ELj2ELN6hipcub20BlockReduceAlgorithmE0EfEvPT2_S3_, .Lfunc_end102-_Z19reduce_array_kernelILj32ELj2ELN6hipcub20BlockReduceAlgorithmE0EfEvPT2_S3_
                                        ; -- End function
	.set _Z19reduce_array_kernelILj32ELj2ELN6hipcub20BlockReduceAlgorithmE0EfEvPT2_S3_.num_vgpr, 7
	.set _Z19reduce_array_kernelILj32ELj2ELN6hipcub20BlockReduceAlgorithmE0EfEvPT2_S3_.num_agpr, 0
	.set _Z19reduce_array_kernelILj32ELj2ELN6hipcub20BlockReduceAlgorithmE0EfEvPT2_S3_.numbered_sgpr, 8
	.set _Z19reduce_array_kernelILj32ELj2ELN6hipcub20BlockReduceAlgorithmE0EfEvPT2_S3_.num_named_barrier, 0
	.set _Z19reduce_array_kernelILj32ELj2ELN6hipcub20BlockReduceAlgorithmE0EfEvPT2_S3_.private_seg_size, 0
	.set _Z19reduce_array_kernelILj32ELj2ELN6hipcub20BlockReduceAlgorithmE0EfEvPT2_S3_.uses_vcc, 1
	.set _Z19reduce_array_kernelILj32ELj2ELN6hipcub20BlockReduceAlgorithmE0EfEvPT2_S3_.uses_flat_scratch, 0
	.set _Z19reduce_array_kernelILj32ELj2ELN6hipcub20BlockReduceAlgorithmE0EfEvPT2_S3_.has_dyn_sized_stack, 0
	.set _Z19reduce_array_kernelILj32ELj2ELN6hipcub20BlockReduceAlgorithmE0EfEvPT2_S3_.has_recursion, 0
	.set _Z19reduce_array_kernelILj32ELj2ELN6hipcub20BlockReduceAlgorithmE0EfEvPT2_S3_.has_indirect_call, 0
	.section	.AMDGPU.csdata,"",@progbits
; Kernel info:
; codeLenInByte = 284
; TotalNumSgprs: 12
; NumVgprs: 7
; ScratchSize: 0
; MemoryBound: 0
; FloatMode: 240
; IeeeMode: 1
; LDSByteSize: 0 bytes/workgroup (compile time only)
; SGPRBlocks: 1
; VGPRBlocks: 1
; NumSGPRsForWavesPerEU: 12
; NumVGPRsForWavesPerEU: 7
; Occupancy: 10
; WaveLimiterHint : 0
; COMPUTE_PGM_RSRC2:SCRATCH_EN: 0
; COMPUTE_PGM_RSRC2:USER_SGPR: 6
; COMPUTE_PGM_RSRC2:TRAP_HANDLER: 0
; COMPUTE_PGM_RSRC2:TGID_X_EN: 1
; COMPUTE_PGM_RSRC2:TGID_Y_EN: 0
; COMPUTE_PGM_RSRC2:TGID_Z_EN: 0
; COMPUTE_PGM_RSRC2:TIDIG_COMP_CNT: 0
	.section	.text._Z19reduce_array_kernelILj6ELj32ELN6hipcub20BlockReduceAlgorithmE0EfEvPT2_S3_,"axG",@progbits,_Z19reduce_array_kernelILj6ELj32ELN6hipcub20BlockReduceAlgorithmE0EfEvPT2_S3_,comdat
	.protected	_Z19reduce_array_kernelILj6ELj32ELN6hipcub20BlockReduceAlgorithmE0EfEvPT2_S3_ ; -- Begin function _Z19reduce_array_kernelILj6ELj32ELN6hipcub20BlockReduceAlgorithmE0EfEvPT2_S3_
	.globl	_Z19reduce_array_kernelILj6ELj32ELN6hipcub20BlockReduceAlgorithmE0EfEvPT2_S3_
	.p2align	8
	.type	_Z19reduce_array_kernelILj6ELj32ELN6hipcub20BlockReduceAlgorithmE0EfEvPT2_S3_,@function
_Z19reduce_array_kernelILj6ELj32ELN6hipcub20BlockReduceAlgorithmE0EfEvPT2_S3_: ; @_Z19reduce_array_kernelILj6ELj32ELN6hipcub20BlockReduceAlgorithmE0EfEvPT2_S3_
; %bb.0:
	s_load_dwordx4 s[0:3], s[4:5], 0x0
	s_mul_i32 s4, s6, 6
	v_add_lshl_u32 v1, s4, v0, 5
	v_mov_b32_e32 v2, 0
	v_lshlrev_b64 v[3:4], 2, v[1:2]
	s_waitcnt lgkmcnt(0)
	v_mov_b32_e32 v1, s1
	v_add_co_u32_e32 v19, vcc, s0, v3
	v_addc_co_u32_e32 v20, vcc, v1, v4, vcc
	global_load_dwordx4 v[3:6], v[19:20], off
	global_load_dwordx4 v[7:10], v[19:20], off offset:16
	global_load_dwordx4 v[11:14], v[19:20], off offset:32
	v_cmp_gt_u32_e32 vcc, 64, v0
	s_mov_b32 s7, 0
	s_waitcnt vmcnt(2)
	v_add_f32_e32 v1, v3, v4
	v_add_f32_e32 v1, v5, v1
	v_add_f32_e32 v1, v6, v1
	global_load_dwordx4 v[3:6], v[19:20], off offset:48
	s_waitcnt vmcnt(2)
	v_add_f32_e32 v1, v7, v1
	v_add_f32_e32 v1, v8, v1
	v_add_f32_e32 v1, v9, v1
	v_add_f32_e32 v1, v10, v1
	global_load_dwordx4 v[7:10], v[19:20], off offset:64
	s_waitcnt vmcnt(2)
	v_add_f32_e32 v1, v11, v1
	;; [unrolled: 6-line block ×3, first 2 shown]
	v_add_f32_e32 v1, v4, v1
	v_add_f32_e32 v1, v5, v1
	;; [unrolled: 1-line block ×3, first 2 shown]
	global_load_dwordx4 v[3:6], v[19:20], off offset:96
	global_load_dwordx4 v[15:18], v[19:20], off offset:112
	s_waitcnt vmcnt(3)
	v_add_f32_e32 v1, v7, v1
	v_add_f32_e32 v1, v8, v1
	;; [unrolled: 1-line block ×4, first 2 shown]
	v_mbcnt_lo_u32_b32 v1, -1, 0
	s_waitcnt vmcnt(2)
	v_add_f32_e32 v7, v11, v7
	v_add_f32_e32 v7, v12, v7
	;; [unrolled: 1-line block ×4, first 2 shown]
	v_mbcnt_hi_u32_b32 v9, -1, v1
	v_and_b32_e32 v1, 7, v9
	v_cndmask_b32_e64 v8, 0, 6, vcc
	v_cmp_ne_u32_e32 vcc, 7, v1
	v_addc_co_u32_e32 v10, vcc, 0, v9, vcc
	v_lshlrev_b32_e32 v10, 2, v10
	v_cmp_gt_u32_e32 vcc, 6, v1
	s_waitcnt vmcnt(1)
	v_add_f32_e32 v3, v3, v7
	v_add_f32_e32 v3, v4, v3
	;; [unrolled: 1-line block ×4, first 2 shown]
	s_waitcnt vmcnt(0)
	v_add_f32_e32 v3, v15, v3
	v_add_f32_e32 v3, v16, v3
	;; [unrolled: 1-line block ×4, first 2 shown]
	ds_bpermute_b32 v4, v10, v3
	v_add_u32_e32 v5, 1, v1
	v_cndmask_b32_e64 v6, 0, 2, vcc
	v_cmp_lt_u32_e32 vcc, v5, v8
	v_add_lshl_u32 v6, v6, v9, 2
	s_waitcnt lgkmcnt(0)
	v_add_f32_e32 v4, v3, v4
	v_cndmask_b32_e32 v4, v3, v4, vcc
	ds_bpermute_b32 v5, v6, v4
	v_add_u32_e32 v6, 2, v1
	v_cmp_lt_u32_e64 s[0:1], v6, v8
	s_waitcnt lgkmcnt(0)
	v_add_f32_e32 v5, v4, v5
	v_cndmask_b32_e64 v4, v4, v5, s[0:1]
	v_lshl_or_b32 v5, v9, 2, 16
	ds_bpermute_b32 v5, v5, v4
	v_cmp_eq_u32_e64 s[0:1], 0, v0
	s_and_saveexec_b64 s[4:5], s[0:1]
	s_cbranch_execz .LBB103_2
; %bb.1:
	s_lshl_b64 s[0:1], s[6:7], 2
	s_add_u32 s2, s2, s0
	s_addc_u32 s3, s3, s1
	s_waitcnt lgkmcnt(0)
	v_add_f32_e32 v0, v4, v5
	v_cmp_gt_u32_e64 s[0:1], 2, v1
	v_cndmask_b32_e64 v0, v4, v0, s[0:1]
	v_cndmask_b32_e32 v0, v3, v0, vcc
	global_store_dword v2, v0, s[2:3]
.LBB103_2:
	s_endpgm
	.section	.rodata,"a",@progbits
	.p2align	6, 0x0
	.amdhsa_kernel _Z19reduce_array_kernelILj6ELj32ELN6hipcub20BlockReduceAlgorithmE0EfEvPT2_S3_
		.amdhsa_group_segment_fixed_size 0
		.amdhsa_private_segment_fixed_size 0
		.amdhsa_kernarg_size 16
		.amdhsa_user_sgpr_count 6
		.amdhsa_user_sgpr_private_segment_buffer 1
		.amdhsa_user_sgpr_dispatch_ptr 0
		.amdhsa_user_sgpr_queue_ptr 0
		.amdhsa_user_sgpr_kernarg_segment_ptr 1
		.amdhsa_user_sgpr_dispatch_id 0
		.amdhsa_user_sgpr_flat_scratch_init 0
		.amdhsa_user_sgpr_private_segment_size 0
		.amdhsa_uses_dynamic_stack 0
		.amdhsa_system_sgpr_private_segment_wavefront_offset 0
		.amdhsa_system_sgpr_workgroup_id_x 1
		.amdhsa_system_sgpr_workgroup_id_y 0
		.amdhsa_system_sgpr_workgroup_id_z 0
		.amdhsa_system_sgpr_workgroup_info 0
		.amdhsa_system_vgpr_workitem_id 0
		.amdhsa_next_free_vgpr 21
		.amdhsa_next_free_sgpr 8
		.amdhsa_reserve_vcc 1
		.amdhsa_reserve_flat_scratch 0
		.amdhsa_float_round_mode_32 0
		.amdhsa_float_round_mode_16_64 0
		.amdhsa_float_denorm_mode_32 3
		.amdhsa_float_denorm_mode_16_64 3
		.amdhsa_dx10_clamp 1
		.amdhsa_ieee_mode 1
		.amdhsa_fp16_overflow 0
		.amdhsa_exception_fp_ieee_invalid_op 0
		.amdhsa_exception_fp_denorm_src 0
		.amdhsa_exception_fp_ieee_div_zero 0
		.amdhsa_exception_fp_ieee_overflow 0
		.amdhsa_exception_fp_ieee_underflow 0
		.amdhsa_exception_fp_ieee_inexact 0
		.amdhsa_exception_int_div_zero 0
	.end_amdhsa_kernel
	.section	.text._Z19reduce_array_kernelILj6ELj32ELN6hipcub20BlockReduceAlgorithmE0EfEvPT2_S3_,"axG",@progbits,_Z19reduce_array_kernelILj6ELj32ELN6hipcub20BlockReduceAlgorithmE0EfEvPT2_S3_,comdat
.Lfunc_end103:
	.size	_Z19reduce_array_kernelILj6ELj32ELN6hipcub20BlockReduceAlgorithmE0EfEvPT2_S3_, .Lfunc_end103-_Z19reduce_array_kernelILj6ELj32ELN6hipcub20BlockReduceAlgorithmE0EfEvPT2_S3_
                                        ; -- End function
	.set _Z19reduce_array_kernelILj6ELj32ELN6hipcub20BlockReduceAlgorithmE0EfEvPT2_S3_.num_vgpr, 21
	.set _Z19reduce_array_kernelILj6ELj32ELN6hipcub20BlockReduceAlgorithmE0EfEvPT2_S3_.num_agpr, 0
	.set _Z19reduce_array_kernelILj6ELj32ELN6hipcub20BlockReduceAlgorithmE0EfEvPT2_S3_.numbered_sgpr, 8
	.set _Z19reduce_array_kernelILj6ELj32ELN6hipcub20BlockReduceAlgorithmE0EfEvPT2_S3_.num_named_barrier, 0
	.set _Z19reduce_array_kernelILj6ELj32ELN6hipcub20BlockReduceAlgorithmE0EfEvPT2_S3_.private_seg_size, 0
	.set _Z19reduce_array_kernelILj6ELj32ELN6hipcub20BlockReduceAlgorithmE0EfEvPT2_S3_.uses_vcc, 1
	.set _Z19reduce_array_kernelILj6ELj32ELN6hipcub20BlockReduceAlgorithmE0EfEvPT2_S3_.uses_flat_scratch, 0
	.set _Z19reduce_array_kernelILj6ELj32ELN6hipcub20BlockReduceAlgorithmE0EfEvPT2_S3_.has_dyn_sized_stack, 0
	.set _Z19reduce_array_kernelILj6ELj32ELN6hipcub20BlockReduceAlgorithmE0EfEvPT2_S3_.has_recursion, 0
	.set _Z19reduce_array_kernelILj6ELj32ELN6hipcub20BlockReduceAlgorithmE0EfEvPT2_S3_.has_indirect_call, 0
	.section	.AMDGPU.csdata,"",@progbits
; Kernel info:
; codeLenInByte = 484
; TotalNumSgprs: 12
; NumVgprs: 21
; ScratchSize: 0
; MemoryBound: 0
; FloatMode: 240
; IeeeMode: 1
; LDSByteSize: 0 bytes/workgroup (compile time only)
; SGPRBlocks: 1
; VGPRBlocks: 5
; NumSGPRsForWavesPerEU: 12
; NumVGPRsForWavesPerEU: 21
; Occupancy: 10
; WaveLimiterHint : 0
; COMPUTE_PGM_RSRC2:SCRATCH_EN: 0
; COMPUTE_PGM_RSRC2:USER_SGPR: 6
; COMPUTE_PGM_RSRC2:TRAP_HANDLER: 0
; COMPUTE_PGM_RSRC2:TGID_X_EN: 1
; COMPUTE_PGM_RSRC2:TGID_Y_EN: 0
; COMPUTE_PGM_RSRC2:TGID_Z_EN: 0
; COMPUTE_PGM_RSRC2:TIDIG_COMP_CNT: 0
	.section	.AMDGPU.gpr_maximums,"",@progbits
	.set amdgpu.max_num_vgpr, 0
	.set amdgpu.max_num_agpr, 0
	.set amdgpu.max_num_sgpr, 0
	.section	.AMDGPU.csdata,"",@progbits
	.type	__hip_cuid_c27eaed6e192e796,@object ; @__hip_cuid_c27eaed6e192e796
	.section	.bss,"aw",@nobits
	.globl	__hip_cuid_c27eaed6e192e796
__hip_cuid_c27eaed6e192e796:
	.byte	0                               ; 0x0
	.size	__hip_cuid_c27eaed6e192e796, 1

	.ident	"AMD clang version 22.0.0git (https://github.com/RadeonOpenCompute/llvm-project roc-7.2.4 26084 f58b06dce1f9c15707c5f808fd002e18c2accf7e)"
	.section	".note.GNU-stack","",@progbits
	.addrsig
	.addrsig_sym __hip_cuid_c27eaed6e192e796
	.amdgpu_metadata
---
amdhsa.kernels:
  - .args:
      - .address_space:  global
        .offset:         0
        .size:           8
        .value_kind:     global_buffer
      - .address_space:  global
        .offset:         8
        .size:           8
        .value_kind:     global_buffer
    .group_segment_fixed_size: 377
    .kernarg_segment_align: 8
    .kernarg_segment_size: 16
    .language:       OpenCL C
    .language_version:
      - 2
      - 0
    .max_flat_workgroup_size: 377
    .name:           _Z13reduce_kernelILj377ELN6hipcub20BlockReduceAlgorithmE2EhEvPT1_S3_
    .private_segment_fixed_size: 0
    .sgpr_count:     11
    .sgpr_spill_count: 0
    .symbol:         _Z13reduce_kernelILj377ELN6hipcub20BlockReduceAlgorithmE2EhEvPT1_S3_.kd
    .uniform_work_group_size: 1
    .uses_dynamic_stack: false
    .vgpr_count:     7
    .vgpr_spill_count: 0
    .wavefront_size: 64
  - .args:
      - .address_space:  global
        .offset:         0
        .size:           8
        .value_kind:     global_buffer
      - .address_space:  global
        .offset:         8
        .size:           8
        .value_kind:     global_buffer
    .group_segment_fixed_size: 1508
    .kernarg_segment_align: 8
    .kernarg_segment_size: 16
    .language:       OpenCL C
    .language_version:
      - 2
      - 0
    .max_flat_workgroup_size: 377
    .name:           _Z13reduce_kernelILj377ELN6hipcub20BlockReduceAlgorithmE2EiEvPT1_S3_
    .private_segment_fixed_size: 0
    .sgpr_count:     12
    .sgpr_spill_count: 0
    .symbol:         _Z13reduce_kernelILj377ELN6hipcub20BlockReduceAlgorithmE2EiEvPT1_S3_.kd
    .uniform_work_group_size: 1
    .uses_dynamic_stack: false
    .vgpr_count:     8
    .vgpr_spill_count: 0
    .wavefront_size: 64
  - .args:
      - .address_space:  global
        .offset:         0
        .size:           8
        .value_kind:     global_buffer
      - .address_space:  global
        .offset:         8
        .size:           8
        .value_kind:     global_buffer
    .group_segment_fixed_size: 1020
    .kernarg_segment_align: 8
    .kernarg_segment_size: 16
    .language:       OpenCL C
    .language_version:
      - 2
      - 0
    .max_flat_workgroup_size: 255
    .name:           _Z13reduce_kernelILj255ELN6hipcub20BlockReduceAlgorithmE2EjEvPT1_S3_
    .private_segment_fixed_size: 0
    .sgpr_count:     12
    .sgpr_spill_count: 0
    .symbol:         _Z13reduce_kernelILj255ELN6hipcub20BlockReduceAlgorithmE2EjEvPT1_S3_.kd
    .uniform_work_group_size: 1
    .uses_dynamic_stack: false
    .vgpr_count:     6
    .vgpr_spill_count: 0
    .wavefront_size: 64
  - .args:
      - .address_space:  global
        .offset:         0
        .size:           8
        .value_kind:     global_buffer
      - .address_space:  global
        .offset:         8
        .size:           8
        .value_kind:     global_buffer
    .group_segment_fixed_size: 324
    .kernarg_segment_align: 8
    .kernarg_segment_size: 16
    .language:       OpenCL C
    .language_version:
      - 2
      - 0
    .max_flat_workgroup_size: 162
    .name:           _Z13reduce_kernelILj162ELN6hipcub20BlockReduceAlgorithmE2EsEvPT1_S3_
    .private_segment_fixed_size: 0
    .sgpr_count:     12
    .sgpr_spill_count: 0
    .symbol:         _Z13reduce_kernelILj162ELN6hipcub20BlockReduceAlgorithmE2EsEvPT1_S3_.kd
    .uniform_work_group_size: 1
    .uses_dynamic_stack: false
    .vgpr_count:     5
    .vgpr_spill_count: 0
    .wavefront_size: 64
  - .args:
      - .address_space:  global
        .offset:         0
        .size:           8
        .value_kind:     global_buffer
      - .address_space:  global
        .offset:         8
        .size:           8
        .value_kind:     global_buffer
    .group_segment_fixed_size: 296
    .kernarg_segment_align: 8
    .kernarg_segment_size: 16
    .language:       OpenCL C
    .language_version:
      - 2
      - 0
    .max_flat_workgroup_size: 37
    .name:           _Z13reduce_kernelILj37ELN6hipcub20BlockReduceAlgorithmE2ElEvPT1_S3_
    .private_segment_fixed_size: 0
    .sgpr_count:     12
    .sgpr_spill_count: 0
    .symbol:         _Z13reduce_kernelILj37ELN6hipcub20BlockReduceAlgorithmE2ElEvPT1_S3_.kd
    .uniform_work_group_size: 1
    .uses_dynamic_stack: false
    .vgpr_count:     9
    .vgpr_spill_count: 0
    .wavefront_size: 64
  - .args:
      - .address_space:  global
        .offset:         0
        .size:           8
        .value_kind:     global_buffer
      - .address_space:  global
        .offset:         8
        .size:           8
        .value_kind:     global_buffer
    .group_segment_fixed_size: 520
    .kernarg_segment_align: 8
    .kernarg_segment_size: 16
    .language:       OpenCL C
    .language_version:
      - 2
      - 0
    .max_flat_workgroup_size: 65
    .name:           _Z13reduce_kernelILj65ELN6hipcub20BlockReduceAlgorithmE2EmEvPT1_S3_
    .private_segment_fixed_size: 0
    .sgpr_count:     12
    .sgpr_spill_count: 0
    .symbol:         _Z13reduce_kernelILj65ELN6hipcub20BlockReduceAlgorithmE2EmEvPT1_S3_.kd
    .uniform_work_group_size: 1
    .uses_dynamic_stack: false
    .vgpr_count:     5
    .vgpr_spill_count: 0
    .wavefront_size: 64
  - .args:
      - .address_space:  global
        .offset:         0
        .size:           8
        .value_kind:     global_buffer
      - .address_space:  global
        .offset:         8
        .size:           8
        .value_kind:     global_buffer
    .group_segment_fixed_size: 4096
    .kernarg_segment_align: 8
    .kernarg_segment_size: 16
    .language:       OpenCL C
    .language_version:
      - 2
      - 0
    .max_flat_workgroup_size: 1024
    .name:           _Z13reduce_kernelILj1024ELN6hipcub20BlockReduceAlgorithmE2EiEvPT1_S3_
    .private_segment_fixed_size: 0
    .sgpr_count:     12
    .sgpr_spill_count: 0
    .symbol:         _Z13reduce_kernelILj1024ELN6hipcub20BlockReduceAlgorithmE2EiEvPT1_S3_.kd
    .uniform_work_group_size: 1
    .uses_dynamic_stack: false
    .vgpr_count:     13
    .vgpr_spill_count: 0
    .wavefront_size: 64
  - .args:
      - .address_space:  global
        .offset:         0
        .size:           8
        .value_kind:     global_buffer
      - .address_space:  global
        .offset:         8
        .size:           8
        .value_kind:     global_buffer
    .group_segment_fixed_size: 2048
    .kernarg_segment_align: 8
    .kernarg_segment_size: 16
    .language:       OpenCL C
    .language_version:
      - 2
      - 0
    .max_flat_workgroup_size: 512
    .name:           _Z13reduce_kernelILj512ELN6hipcub20BlockReduceAlgorithmE2EiEvPT1_S3_
    .private_segment_fixed_size: 0
    .sgpr_count:     12
    .sgpr_spill_count: 0
    .symbol:         _Z13reduce_kernelILj512ELN6hipcub20BlockReduceAlgorithmE2EiEvPT1_S3_.kd
    .uniform_work_group_size: 1
    .uses_dynamic_stack: false
    .vgpr_count:     10
    .vgpr_spill_count: 0
    .wavefront_size: 64
  - .args:
      - .address_space:  global
        .offset:         0
        .size:           8
        .value_kind:     global_buffer
      - .address_space:  global
        .offset:         8
        .size:           8
        .value_kind:     global_buffer
    .group_segment_fixed_size: 1024
    .kernarg_segment_align: 8
    .kernarg_segment_size: 16
    .language:       OpenCL C
    .language_version:
      - 2
      - 0
    .max_flat_workgroup_size: 256
    .name:           _Z13reduce_kernelILj256ELN6hipcub20BlockReduceAlgorithmE2EiEvPT1_S3_
    .private_segment_fixed_size: 0
    .sgpr_count:     12
    .sgpr_spill_count: 0
    .symbol:         _Z13reduce_kernelILj256ELN6hipcub20BlockReduceAlgorithmE2EiEvPT1_S3_.kd
    .uniform_work_group_size: 1
    .uses_dynamic_stack: false
    .vgpr_count:     7
    .vgpr_spill_count: 0
    .wavefront_size: 64
  - .args:
      - .address_space:  global
        .offset:         0
        .size:           8
        .value_kind:     global_buffer
      - .address_space:  global
        .offset:         8
        .size:           8
        .value_kind:     global_buffer
    .group_segment_fixed_size: 768
    .kernarg_segment_align: 8
    .kernarg_segment_size: 16
    .language:       OpenCL C
    .language_version:
      - 2
      - 0
    .max_flat_workgroup_size: 192
    .name:           _Z13reduce_kernelILj192ELN6hipcub20BlockReduceAlgorithmE2EiEvPT1_S3_
    .private_segment_fixed_size: 0
    .sgpr_count:     12
    .sgpr_spill_count: 0
    .symbol:         _Z13reduce_kernelILj192ELN6hipcub20BlockReduceAlgorithmE2EiEvPT1_S3_.kd
    .uniform_work_group_size: 1
    .uses_dynamic_stack: false
    .vgpr_count:     6
    .vgpr_spill_count: 0
    .wavefront_size: 64
  - .args:
      - .address_space:  global
        .offset:         0
        .size:           8
        .value_kind:     global_buffer
      - .address_space:  global
        .offset:         8
        .size:           8
        .value_kind:     global_buffer
    .group_segment_fixed_size: 512
    .kernarg_segment_align: 8
    .kernarg_segment_size: 16
    .language:       OpenCL C
    .language_version:
      - 2
      - 0
    .max_flat_workgroup_size: 128
    .name:           _Z13reduce_kernelILj128ELN6hipcub20BlockReduceAlgorithmE2EiEvPT1_S3_
    .private_segment_fixed_size: 0
    .sgpr_count:     12
    .sgpr_spill_count: 0
    .symbol:         _Z13reduce_kernelILj128ELN6hipcub20BlockReduceAlgorithmE2EiEvPT1_S3_.kd
    .uniform_work_group_size: 1
    .uses_dynamic_stack: false
    .vgpr_count:     5
    .vgpr_spill_count: 0
    .wavefront_size: 64
  - .args:
      - .address_space:  global
        .offset:         0
        .size:           8
        .value_kind:     global_buffer
      - .address_space:  global
        .offset:         8
        .size:           8
        .value_kind:     global_buffer
    .group_segment_fixed_size: 256
    .kernarg_segment_align: 8
    .kernarg_segment_size: 16
    .language:       OpenCL C
    .language_version:
      - 2
      - 0
    .max_flat_workgroup_size: 64
    .name:           _Z13reduce_kernelILj64ELN6hipcub20BlockReduceAlgorithmE2EiEvPT1_S3_
    .private_segment_fixed_size: 0
    .sgpr_count:     12
    .sgpr_spill_count: 0
    .symbol:         _Z13reduce_kernelILj64ELN6hipcub20BlockReduceAlgorithmE2EiEvPT1_S3_.kd
    .uniform_work_group_size: 1
    .uses_dynamic_stack: false
    .vgpr_count:     4
    .vgpr_spill_count: 0
    .wavefront_size: 64
  - .args:
      - .address_space:  global
        .offset:         0
        .size:           8
        .value_kind:     global_buffer
      - .address_space:  global
        .offset:         8
        .size:           8
        .value_kind:     global_buffer
    .group_segment_fixed_size: 377
    .kernarg_segment_align: 8
    .kernarg_segment_size: 16
    .language:       OpenCL C
    .language_version:
      - 2
      - 0
    .max_flat_workgroup_size: 377
    .name:           _Z13reduce_kernelILj377ELN6hipcub20BlockReduceAlgorithmE1EhEvPT1_S3_
    .private_segment_fixed_size: 0
    .sgpr_count:     11
    .sgpr_spill_count: 0
    .symbol:         _Z13reduce_kernelILj377ELN6hipcub20BlockReduceAlgorithmE1EhEvPT1_S3_.kd
    .uniform_work_group_size: 1
    .uses_dynamic_stack: false
    .vgpr_count:     9
    .vgpr_spill_count: 0
    .wavefront_size: 64
  - .args:
      - .address_space:  global
        .offset:         0
        .size:           8
        .value_kind:     global_buffer
      - .address_space:  global
        .offset:         8
        .size:           8
        .value_kind:     global_buffer
    .group_segment_fixed_size: 1508
    .kernarg_segment_align: 8
    .kernarg_segment_size: 16
    .language:       OpenCL C
    .language_version:
      - 2
      - 0
    .max_flat_workgroup_size: 377
    .name:           _Z13reduce_kernelILj377ELN6hipcub20BlockReduceAlgorithmE1EiEvPT1_S3_
    .private_segment_fixed_size: 0
    .sgpr_count:     12
    .sgpr_spill_count: 0
    .symbol:         _Z13reduce_kernelILj377ELN6hipcub20BlockReduceAlgorithmE1EiEvPT1_S3_.kd
    .uniform_work_group_size: 1
    .uses_dynamic_stack: false
    .vgpr_count:     7
    .vgpr_spill_count: 0
    .wavefront_size: 64
  - .args:
      - .address_space:  global
        .offset:         0
        .size:           8
        .value_kind:     global_buffer
      - .address_space:  global
        .offset:         8
        .size:           8
        .value_kind:     global_buffer
    .group_segment_fixed_size: 1020
    .kernarg_segment_align: 8
    .kernarg_segment_size: 16
    .language:       OpenCL C
    .language_version:
      - 2
      - 0
    .max_flat_workgroup_size: 255
    .name:           _Z13reduce_kernelILj255ELN6hipcub20BlockReduceAlgorithmE1EjEvPT1_S3_
    .private_segment_fixed_size: 0
    .sgpr_count:     12
    .sgpr_spill_count: 0
    .symbol:         _Z13reduce_kernelILj255ELN6hipcub20BlockReduceAlgorithmE1EjEvPT1_S3_.kd
    .uniform_work_group_size: 1
    .uses_dynamic_stack: false
    .vgpr_count:     6
    .vgpr_spill_count: 0
    .wavefront_size: 64
  - .args:
      - .address_space:  global
        .offset:         0
        .size:           8
        .value_kind:     global_buffer
      - .address_space:  global
        .offset:         8
        .size:           8
        .value_kind:     global_buffer
    .group_segment_fixed_size: 324
    .kernarg_segment_align: 8
    .kernarg_segment_size: 16
    .language:       OpenCL C
    .language_version:
      - 2
      - 0
    .max_flat_workgroup_size: 162
    .name:           _Z13reduce_kernelILj162ELN6hipcub20BlockReduceAlgorithmE1EsEvPT1_S3_
    .private_segment_fixed_size: 0
    .sgpr_count:     12
    .sgpr_spill_count: 0
    .symbol:         _Z13reduce_kernelILj162ELN6hipcub20BlockReduceAlgorithmE1EsEvPT1_S3_.kd
    .uniform_work_group_size: 1
    .uses_dynamic_stack: false
    .vgpr_count:     7
    .vgpr_spill_count: 0
    .wavefront_size: 64
  - .args:
      - .address_space:  global
        .offset:         0
        .size:           8
        .value_kind:     global_buffer
      - .address_space:  global
        .offset:         8
        .size:           8
        .value_kind:     global_buffer
    .group_segment_fixed_size: 296
    .kernarg_segment_align: 8
    .kernarg_segment_size: 16
    .language:       OpenCL C
    .language_version:
      - 2
      - 0
    .max_flat_workgroup_size: 37
    .name:           _Z13reduce_kernelILj37ELN6hipcub20BlockReduceAlgorithmE1ElEvPT1_S3_
    .private_segment_fixed_size: 0
    .sgpr_count:     12
    .sgpr_spill_count: 0
    .symbol:         _Z13reduce_kernelILj37ELN6hipcub20BlockReduceAlgorithmE1ElEvPT1_S3_.kd
    .uniform_work_group_size: 1
    .uses_dynamic_stack: false
    .vgpr_count:     9
    .vgpr_spill_count: 0
    .wavefront_size: 64
  - .args:
      - .address_space:  global
        .offset:         0
        .size:           8
        .value_kind:     global_buffer
      - .address_space:  global
        .offset:         8
        .size:           8
        .value_kind:     global_buffer
    .group_segment_fixed_size: 520
    .kernarg_segment_align: 8
    .kernarg_segment_size: 16
    .language:       OpenCL C
    .language_version:
      - 2
      - 0
    .max_flat_workgroup_size: 65
    .name:           _Z13reduce_kernelILj65ELN6hipcub20BlockReduceAlgorithmE1EmEvPT1_S3_
    .private_segment_fixed_size: 0
    .sgpr_count:     12
    .sgpr_spill_count: 0
    .symbol:         _Z13reduce_kernelILj65ELN6hipcub20BlockReduceAlgorithmE1EmEvPT1_S3_.kd
    .uniform_work_group_size: 1
    .uses_dynamic_stack: false
    .vgpr_count:     9
    .vgpr_spill_count: 0
    .wavefront_size: 64
  - .args:
      - .address_space:  global
        .offset:         0
        .size:           8
        .value_kind:     global_buffer
      - .address_space:  global
        .offset:         8
        .size:           8
        .value_kind:     global_buffer
    .group_segment_fixed_size: 4096
    .kernarg_segment_align: 8
    .kernarg_segment_size: 16
    .language:       OpenCL C
    .language_version:
      - 2
      - 0
    .max_flat_workgroup_size: 1024
    .name:           _Z13reduce_kernelILj1024ELN6hipcub20BlockReduceAlgorithmE1EiEvPT1_S3_
    .private_segment_fixed_size: 0
    .sgpr_count:     12
    .sgpr_spill_count: 0
    .symbol:         _Z13reduce_kernelILj1024ELN6hipcub20BlockReduceAlgorithmE1EiEvPT1_S3_.kd
    .uniform_work_group_size: 1
    .uses_dynamic_stack: false
    .vgpr_count:     18
    .vgpr_spill_count: 0
    .wavefront_size: 64
  - .args:
      - .address_space:  global
        .offset:         0
        .size:           8
        .value_kind:     global_buffer
      - .address_space:  global
        .offset:         8
        .size:           8
        .value_kind:     global_buffer
    .group_segment_fixed_size: 2048
    .kernarg_segment_align: 8
    .kernarg_segment_size: 16
    .language:       OpenCL C
    .language_version:
      - 2
      - 0
    .max_flat_workgroup_size: 512
    .name:           _Z13reduce_kernelILj512ELN6hipcub20BlockReduceAlgorithmE1EiEvPT1_S3_
    .private_segment_fixed_size: 0
    .sgpr_count:     12
    .sgpr_spill_count: 0
    .symbol:         _Z13reduce_kernelILj512ELN6hipcub20BlockReduceAlgorithmE1EiEvPT1_S3_.kd
    .uniform_work_group_size: 1
    .uses_dynamic_stack: false
    .vgpr_count:     11
    .vgpr_spill_count: 0
    .wavefront_size: 64
  - .args:
      - .address_space:  global
        .offset:         0
        .size:           8
        .value_kind:     global_buffer
      - .address_space:  global
        .offset:         8
        .size:           8
        .value_kind:     global_buffer
    .group_segment_fixed_size: 1024
    .kernarg_segment_align: 8
    .kernarg_segment_size: 16
    .language:       OpenCL C
    .language_version:
      - 2
      - 0
    .max_flat_workgroup_size: 256
    .name:           _Z13reduce_kernelILj256ELN6hipcub20BlockReduceAlgorithmE1EiEvPT1_S3_
    .private_segment_fixed_size: 0
    .sgpr_count:     12
    .sgpr_spill_count: 0
    .symbol:         _Z13reduce_kernelILj256ELN6hipcub20BlockReduceAlgorithmE1EiEvPT1_S3_.kd
    .uniform_work_group_size: 1
    .uses_dynamic_stack: false
    .vgpr_count:     7
    .vgpr_spill_count: 0
    .wavefront_size: 64
  - .args:
      - .address_space:  global
        .offset:         0
        .size:           8
        .value_kind:     global_buffer
      - .address_space:  global
        .offset:         8
        .size:           8
        .value_kind:     global_buffer
    .group_segment_fixed_size: 768
    .kernarg_segment_align: 8
    .kernarg_segment_size: 16
    .language:       OpenCL C
    .language_version:
      - 2
      - 0
    .max_flat_workgroup_size: 192
    .name:           _Z13reduce_kernelILj192ELN6hipcub20BlockReduceAlgorithmE1EiEvPT1_S3_
    .private_segment_fixed_size: 0
    .sgpr_count:     12
    .sgpr_spill_count: 0
    .symbol:         _Z13reduce_kernelILj192ELN6hipcub20BlockReduceAlgorithmE1EiEvPT1_S3_.kd
    .uniform_work_group_size: 1
    .uses_dynamic_stack: false
    .vgpr_count:     6
    .vgpr_spill_count: 0
    .wavefront_size: 64
  - .args:
      - .address_space:  global
        .offset:         0
        .size:           8
        .value_kind:     global_buffer
      - .address_space:  global
        .offset:         8
        .size:           8
        .value_kind:     global_buffer
    .group_segment_fixed_size: 512
    .kernarg_segment_align: 8
    .kernarg_segment_size: 16
    .language:       OpenCL C
    .language_version:
      - 2
      - 0
    .max_flat_workgroup_size: 128
    .name:           _Z13reduce_kernelILj128ELN6hipcub20BlockReduceAlgorithmE1EiEvPT1_S3_
    .private_segment_fixed_size: 0
    .sgpr_count:     12
    .sgpr_spill_count: 0
    .symbol:         _Z13reduce_kernelILj128ELN6hipcub20BlockReduceAlgorithmE1EiEvPT1_S3_.kd
    .uniform_work_group_size: 1
    .uses_dynamic_stack: false
    .vgpr_count:     5
    .vgpr_spill_count: 0
    .wavefront_size: 64
  - .args:
      - .address_space:  global
        .offset:         0
        .size:           8
        .value_kind:     global_buffer
      - .address_space:  global
        .offset:         8
        .size:           8
        .value_kind:     global_buffer
    .group_segment_fixed_size: 256
    .kernarg_segment_align: 8
    .kernarg_segment_size: 16
    .language:       OpenCL C
    .language_version:
      - 2
      - 0
    .max_flat_workgroup_size: 64
    .name:           _Z13reduce_kernelILj64ELN6hipcub20BlockReduceAlgorithmE1EiEvPT1_S3_
    .private_segment_fixed_size: 0
    .sgpr_count:     12
    .sgpr_spill_count: 0
    .symbol:         _Z13reduce_kernelILj64ELN6hipcub20BlockReduceAlgorithmE1EiEvPT1_S3_.kd
    .uniform_work_group_size: 1
    .uses_dynamic_stack: false
    .vgpr_count:     5
    .vgpr_spill_count: 0
    .wavefront_size: 64
  - .args:
      - .address_space:  global
        .offset:         0
        .size:           8
        .value_kind:     global_buffer
      - .address_space:  global
        .offset:         8
        .size:           8
        .value_kind:     global_buffer
    .group_segment_fixed_size: 48
    .kernarg_segment_align: 8
    .kernarg_segment_size: 16
    .language:       OpenCL C
    .language_version:
      - 2
      - 0
    .max_flat_workgroup_size: 377
    .name:           _Z13reduce_kernelILj377ELN6hipcub20BlockReduceAlgorithmE0ElEvPT1_S3_
    .private_segment_fixed_size: 0
    .sgpr_count:     12
    .sgpr_spill_count: 0
    .symbol:         _Z13reduce_kernelILj377ELN6hipcub20BlockReduceAlgorithmE0ElEvPT1_S3_.kd
    .uniform_work_group_size: 1
    .uses_dynamic_stack: false
    .vgpr_count:     10
    .vgpr_spill_count: 0
    .wavefront_size: 64
  - .args:
      - .address_space:  global
        .offset:         0
        .size:           8
        .value_kind:     global_buffer
      - .address_space:  global
        .offset:         8
        .size:           8
        .value_kind:     global_buffer
    .group_segment_fixed_size: 32
    .kernarg_segment_align: 8
    .kernarg_segment_size: 16
    .language:       OpenCL C
    .language_version:
      - 2
      - 0
    .max_flat_workgroup_size: 256
    .name:           _Z13reduce_kernelILj256ELN6hipcub20BlockReduceAlgorithmE0ElEvPT1_S3_
    .private_segment_fixed_size: 0
    .sgpr_count:     12
    .sgpr_spill_count: 0
    .symbol:         _Z13reduce_kernelILj256ELN6hipcub20BlockReduceAlgorithmE0ElEvPT1_S3_.kd
    .uniform_work_group_size: 1
    .uses_dynamic_stack: false
    .vgpr_count:     8
    .vgpr_spill_count: 0
    .wavefront_size: 64
  - .args:
      - .address_space:  global
        .offset:         0
        .size:           8
        .value_kind:     global_buffer
      - .address_space:  global
        .offset:         8
        .size:           8
        .value_kind:     global_buffer
    .group_segment_fixed_size: 0
    .kernarg_segment_align: 8
    .kernarg_segment_size: 16
    .language:       OpenCL C
    .language_version:
      - 2
      - 0
    .max_flat_workgroup_size: 64
    .name:           _Z13reduce_kernelILj64ELN6hipcub20BlockReduceAlgorithmE0ElEvPT1_S3_
    .private_segment_fixed_size: 0
    .sgpr_count:     12
    .sgpr_spill_count: 0
    .symbol:         _Z13reduce_kernelILj64ELN6hipcub20BlockReduceAlgorithmE0ElEvPT1_S3_.kd
    .uniform_work_group_size: 1
    .uses_dynamic_stack: false
    .vgpr_count:     7
    .vgpr_spill_count: 0
    .wavefront_size: 64
  - .args:
      - .address_space:  global
        .offset:         0
        .size:           8
        .value_kind:     global_buffer
      - .address_space:  global
        .offset:         8
        .size:           8
        .value_kind:     global_buffer
    .group_segment_fixed_size: 24
    .kernarg_segment_align: 8
    .kernarg_segment_size: 16
    .language:       OpenCL C
    .language_version:
      - 2
      - 0
    .max_flat_workgroup_size: 377
    .name:           _Z13reduce_kernelILj377ELN6hipcub20BlockReduceAlgorithmE0EjEvPT1_S3_
    .private_segment_fixed_size: 0
    .sgpr_count:     12
    .sgpr_spill_count: 0
    .symbol:         _Z13reduce_kernelILj377ELN6hipcub20BlockReduceAlgorithmE0EjEvPT1_S3_.kd
    .uniform_work_group_size: 1
    .uses_dynamic_stack: false
    .vgpr_count:     11
    .vgpr_spill_count: 0
    .wavefront_size: 64
  - .args:
      - .address_space:  global
        .offset:         0
        .size:           8
        .value_kind:     global_buffer
      - .address_space:  global
        .offset:         8
        .size:           8
        .value_kind:     global_buffer
    .group_segment_fixed_size: 16
    .kernarg_segment_align: 8
    .kernarg_segment_size: 16
    .language:       OpenCL C
    .language_version:
      - 2
      - 0
    .max_flat_workgroup_size: 256
    .name:           _Z13reduce_kernelILj256ELN6hipcub20BlockReduceAlgorithmE0EjEvPT1_S3_
    .private_segment_fixed_size: 0
    .sgpr_count:     12
    .sgpr_spill_count: 0
    .symbol:         _Z13reduce_kernelILj256ELN6hipcub20BlockReduceAlgorithmE0EjEvPT1_S3_.kd
    .uniform_work_group_size: 1
    .uses_dynamic_stack: false
    .vgpr_count:     5
    .vgpr_spill_count: 0
    .wavefront_size: 64
  - .args:
      - .address_space:  global
        .offset:         0
        .size:           8
        .value_kind:     global_buffer
      - .address_space:  global
        .offset:         8
        .size:           8
        .value_kind:     global_buffer
    .group_segment_fixed_size: 0
    .kernarg_segment_align: 8
    .kernarg_segment_size: 16
    .language:       OpenCL C
    .language_version:
      - 2
      - 0
    .max_flat_workgroup_size: 64
    .name:           _Z13reduce_kernelILj64ELN6hipcub20BlockReduceAlgorithmE0EjEvPT1_S3_
    .private_segment_fixed_size: 0
    .sgpr_count:     12
    .sgpr_spill_count: 0
    .symbol:         _Z13reduce_kernelILj64ELN6hipcub20BlockReduceAlgorithmE0EjEvPT1_S3_.kd
    .uniform_work_group_size: 1
    .uses_dynamic_stack: false
    .vgpr_count:     6
    .vgpr_spill_count: 0
    .wavefront_size: 64
  - .args:
      - .address_space:  global
        .offset:         0
        .size:           8
        .value_kind:     global_buffer
      - .address_space:  global
        .offset:         8
        .size:           8
        .value_kind:     global_buffer
    .group_segment_fixed_size: 16
    .kernarg_segment_align: 8
    .kernarg_segment_size: 16
    .language:       OpenCL C
    .language_version:
      - 2
      - 0
    .max_flat_workgroup_size: 255
    .name:           _Z13reduce_kernelILj255ELN6hipcub20BlockReduceAlgorithmE0EiEvPT1_S3_
    .private_segment_fixed_size: 0
    .sgpr_count:     12
    .sgpr_spill_count: 0
    .symbol:         _Z13reduce_kernelILj255ELN6hipcub20BlockReduceAlgorithmE0EiEvPT1_S3_.kd
    .uniform_work_group_size: 1
    .uses_dynamic_stack: false
    .vgpr_count:     11
    .vgpr_spill_count: 0
    .wavefront_size: 64
  - .args:
      - .address_space:  global
        .offset:         0
        .size:           8
        .value_kind:     global_buffer
      - .address_space:  global
        .offset:         8
        .size:           8
        .value_kind:     global_buffer
    .group_segment_fixed_size: 12
    .kernarg_segment_align: 8
    .kernarg_segment_size: 16
    .language:       OpenCL C
    .language_version:
      - 2
      - 0
    .max_flat_workgroup_size: 162
    .name:           _Z13reduce_kernelILj162ELN6hipcub20BlockReduceAlgorithmE0EiEvPT1_S3_
    .private_segment_fixed_size: 0
    .sgpr_count:     12
    .sgpr_spill_count: 0
    .symbol:         _Z13reduce_kernelILj162ELN6hipcub20BlockReduceAlgorithmE0EiEvPT1_S3_.kd
    .uniform_work_group_size: 1
    .uses_dynamic_stack: false
    .vgpr_count:     11
    .vgpr_spill_count: 0
    .wavefront_size: 64
  - .args:
      - .address_space:  global
        .offset:         0
        .size:           8
        .value_kind:     global_buffer
      - .address_space:  global
        .offset:         8
        .size:           8
        .value_kind:     global_buffer
    .group_segment_fixed_size: 12
    .kernarg_segment_align: 8
    .kernarg_segment_size: 16
    .language:       OpenCL C
    .language_version:
      - 2
      - 0
    .max_flat_workgroup_size: 129
    .name:           _Z13reduce_kernelILj129ELN6hipcub20BlockReduceAlgorithmE0EiEvPT1_S3_
    .private_segment_fixed_size: 0
    .sgpr_count:     12
    .sgpr_spill_count: 0
    .symbol:         _Z13reduce_kernelILj129ELN6hipcub20BlockReduceAlgorithmE0EiEvPT1_S3_.kd
    .uniform_work_group_size: 1
    .uses_dynamic_stack: false
    .vgpr_count:     11
    .vgpr_spill_count: 0
    .wavefront_size: 64
  - .args:
      - .address_space:  global
        .offset:         0
        .size:           8
        .value_kind:     global_buffer
      - .address_space:  global
        .offset:         8
        .size:           8
        .value_kind:     global_buffer
    .group_segment_fixed_size: 0
    .kernarg_segment_align: 8
    .kernarg_segment_size: 16
    .language:       OpenCL C
    .language_version:
      - 2
      - 0
    .max_flat_workgroup_size: 37
    .name:           _Z13reduce_kernelILj37ELN6hipcub20BlockReduceAlgorithmE0EiEvPT1_S3_
    .private_segment_fixed_size: 0
    .sgpr_count:     12
    .sgpr_spill_count: 0
    .symbol:         _Z13reduce_kernelILj37ELN6hipcub20BlockReduceAlgorithmE0EiEvPT1_S3_.kd
    .uniform_work_group_size: 1
    .uses_dynamic_stack: false
    .vgpr_count:     12
    .vgpr_spill_count: 0
    .wavefront_size: 64
  - .args:
      - .address_space:  global
        .offset:         0
        .size:           8
        .value_kind:     global_buffer
      - .address_space:  global
        .offset:         8
        .size:           8
        .value_kind:     global_buffer
    .group_segment_fixed_size: 8
    .kernarg_segment_align: 8
    .kernarg_segment_size: 16
    .language:       OpenCL C
    .language_version:
      - 2
      - 0
    .max_flat_workgroup_size: 65
    .name:           _Z13reduce_kernelILj65ELN6hipcub20BlockReduceAlgorithmE0EiEvPT1_S3_
    .private_segment_fixed_size: 0
    .sgpr_count:     12
    .sgpr_spill_count: 0
    .symbol:         _Z13reduce_kernelILj65ELN6hipcub20BlockReduceAlgorithmE0EiEvPT1_S3_.kd
    .uniform_work_group_size: 1
    .uses_dynamic_stack: false
    .vgpr_count:     11
    .vgpr_spill_count: 0
    .wavefront_size: 64
  - .args:
      - .address_space:  global
        .offset:         0
        .size:           8
        .value_kind:     global_buffer
      - .address_space:  global
        .offset:         8
        .size:           8
        .value_kind:     global_buffer
    .group_segment_fixed_size: 64
    .kernarg_segment_align: 8
    .kernarg_segment_size: 16
    .language:       OpenCL C
    .language_version:
      - 2
      - 0
    .max_flat_workgroup_size: 1024
    .name:           _Z13reduce_kernelILj1024ELN6hipcub20BlockReduceAlgorithmE0EiEvPT1_S3_
    .private_segment_fixed_size: 0
    .sgpr_count:     12
    .sgpr_spill_count: 0
    .symbol:         _Z13reduce_kernelILj1024ELN6hipcub20BlockReduceAlgorithmE0EiEvPT1_S3_.kd
    .uniform_work_group_size: 1
    .uses_dynamic_stack: false
    .vgpr_count:     7
    .vgpr_spill_count: 0
    .wavefront_size: 64
  - .args:
      - .address_space:  global
        .offset:         0
        .size:           8
        .value_kind:     global_buffer
      - .address_space:  global
        .offset:         8
        .size:           8
        .value_kind:     global_buffer
    .group_segment_fixed_size: 32
    .kernarg_segment_align: 8
    .kernarg_segment_size: 16
    .language:       OpenCL C
    .language_version:
      - 2
      - 0
    .max_flat_workgroup_size: 512
    .name:           _Z13reduce_kernelILj512ELN6hipcub20BlockReduceAlgorithmE0EiEvPT1_S3_
    .private_segment_fixed_size: 0
    .sgpr_count:     12
    .sgpr_spill_count: 0
    .symbol:         _Z13reduce_kernelILj512ELN6hipcub20BlockReduceAlgorithmE0EiEvPT1_S3_.kd
    .uniform_work_group_size: 1
    .uses_dynamic_stack: false
    .vgpr_count:     6
    .vgpr_spill_count: 0
    .wavefront_size: 64
  - .args:
      - .address_space:  global
        .offset:         0
        .size:           8
        .value_kind:     global_buffer
      - .address_space:  global
        .offset:         8
        .size:           8
        .value_kind:     global_buffer
    .group_segment_fixed_size: 16
    .kernarg_segment_align: 8
    .kernarg_segment_size: 16
    .language:       OpenCL C
    .language_version:
      - 2
      - 0
    .max_flat_workgroup_size: 256
    .name:           _Z13reduce_kernelILj256ELN6hipcub20BlockReduceAlgorithmE0EiEvPT1_S3_
    .private_segment_fixed_size: 0
    .sgpr_count:     12
    .sgpr_spill_count: 0
    .symbol:         _Z13reduce_kernelILj256ELN6hipcub20BlockReduceAlgorithmE0EiEvPT1_S3_.kd
    .uniform_work_group_size: 1
    .uses_dynamic_stack: false
    .vgpr_count:     5
    .vgpr_spill_count: 0
    .wavefront_size: 64
  - .args:
      - .address_space:  global
        .offset:         0
        .size:           8
        .value_kind:     global_buffer
      - .address_space:  global
        .offset:         8
        .size:           8
        .value_kind:     global_buffer
    .group_segment_fixed_size: 12
    .kernarg_segment_align: 8
    .kernarg_segment_size: 16
    .language:       OpenCL C
    .language_version:
      - 2
      - 0
    .max_flat_workgroup_size: 192
    .name:           _Z13reduce_kernelILj192ELN6hipcub20BlockReduceAlgorithmE0EiEvPT1_S3_
    .private_segment_fixed_size: 0
    .sgpr_count:     12
    .sgpr_spill_count: 0
    .symbol:         _Z13reduce_kernelILj192ELN6hipcub20BlockReduceAlgorithmE0EiEvPT1_S3_.kd
    .uniform_work_group_size: 1
    .uses_dynamic_stack: false
    .vgpr_count:     5
    .vgpr_spill_count: 0
    .wavefront_size: 64
  - .args:
      - .address_space:  global
        .offset:         0
        .size:           8
        .value_kind:     global_buffer
      - .address_space:  global
        .offset:         8
        .size:           8
        .value_kind:     global_buffer
    .group_segment_fixed_size: 8
    .kernarg_segment_align: 8
    .kernarg_segment_size: 16
    .language:       OpenCL C
    .language_version:
      - 2
      - 0
    .max_flat_workgroup_size: 128
    .name:           _Z13reduce_kernelILj128ELN6hipcub20BlockReduceAlgorithmE0EiEvPT1_S3_
    .private_segment_fixed_size: 0
    .sgpr_count:     12
    .sgpr_spill_count: 0
    .symbol:         _Z13reduce_kernelILj128ELN6hipcub20BlockReduceAlgorithmE0EiEvPT1_S3_.kd
    .uniform_work_group_size: 1
    .uses_dynamic_stack: false
    .vgpr_count:     5
    .vgpr_spill_count: 0
    .wavefront_size: 64
  - .args:
      - .address_space:  global
        .offset:         0
        .size:           8
        .value_kind:     global_buffer
      - .address_space:  global
        .offset:         8
        .size:           8
        .value_kind:     global_buffer
    .group_segment_fixed_size: 0
    .kernarg_segment_align: 8
    .kernarg_segment_size: 16
    .language:       OpenCL C
    .language_version:
      - 2
      - 0
    .max_flat_workgroup_size: 64
    .name:           _Z13reduce_kernelILj64ELN6hipcub20BlockReduceAlgorithmE0EiEvPT1_S3_
    .private_segment_fixed_size: 0
    .sgpr_count:     12
    .sgpr_spill_count: 0
    .symbol:         _Z13reduce_kernelILj64ELN6hipcub20BlockReduceAlgorithmE0EiEvPT1_S3_.kd
    .uniform_work_group_size: 1
    .uses_dynamic_stack: false
    .vgpr_count:     6
    .vgpr_spill_count: 0
    .wavefront_size: 64
  - .args:
      - .address_space:  global
        .offset:         0
        .size:           8
        .value_kind:     global_buffer
      - .address_space:  global
        .offset:         8
        .size:           8
        .value_kind:     global_buffer
      - .offset:         16
        .size:           4
        .value_kind:     by_value
    .group_segment_fixed_size: 377
    .kernarg_segment_align: 8
    .kernarg_segment_size: 20
    .language:       OpenCL C
    .language_version:
      - 2
      - 0
    .max_flat_workgroup_size: 377
    .name:           _Z19reduce_valid_kernelILj377ELN6hipcub20BlockReduceAlgorithmE2EhEvPT1_S3_j
    .private_segment_fixed_size: 0
    .sgpr_count:     19
    .sgpr_spill_count: 0
    .symbol:         _Z19reduce_valid_kernelILj377ELN6hipcub20BlockReduceAlgorithmE2EhEvPT1_S3_j.kd
    .uniform_work_group_size: 1
    .uses_dynamic_stack: false
    .vgpr_count:     14
    .vgpr_spill_count: 0
    .wavefront_size: 64
  - .args:
      - .address_space:  global
        .offset:         0
        .size:           8
        .value_kind:     global_buffer
      - .address_space:  global
        .offset:         8
        .size:           8
        .value_kind:     global_buffer
      - .offset:         16
        .size:           4
        .value_kind:     by_value
    .group_segment_fixed_size: 1508
    .kernarg_segment_align: 8
    .kernarg_segment_size: 20
    .language:       OpenCL C
    .language_version:
      - 2
      - 0
    .max_flat_workgroup_size: 377
    .name:           _Z19reduce_valid_kernelILj377ELN6hipcub20BlockReduceAlgorithmE2EiEvPT1_S3_j
    .private_segment_fixed_size: 0
    .sgpr_count:     14
    .sgpr_spill_count: 0
    .symbol:         _Z19reduce_valid_kernelILj377ELN6hipcub20BlockReduceAlgorithmE2EiEvPT1_S3_j.kd
    .uniform_work_group_size: 1
    .uses_dynamic_stack: false
    .vgpr_count:     6
    .vgpr_spill_count: 0
    .wavefront_size: 64
  - .args:
      - .address_space:  global
        .offset:         0
        .size:           8
        .value_kind:     global_buffer
      - .address_space:  global
        .offset:         8
        .size:           8
        .value_kind:     global_buffer
      - .offset:         16
        .size:           4
        .value_kind:     by_value
    .group_segment_fixed_size: 1020
    .kernarg_segment_align: 8
    .kernarg_segment_size: 20
    .language:       OpenCL C
    .language_version:
      - 2
      - 0
    .max_flat_workgroup_size: 255
    .name:           _Z19reduce_valid_kernelILj255ELN6hipcub20BlockReduceAlgorithmE2EjEvPT1_S3_j
    .private_segment_fixed_size: 0
    .sgpr_count:     14
    .sgpr_spill_count: 0
    .symbol:         _Z19reduce_valid_kernelILj255ELN6hipcub20BlockReduceAlgorithmE2EjEvPT1_S3_j.kd
    .uniform_work_group_size: 1
    .uses_dynamic_stack: false
    .vgpr_count:     6
    .vgpr_spill_count: 0
    .wavefront_size: 64
  - .args:
      - .address_space:  global
        .offset:         0
        .size:           8
        .value_kind:     global_buffer
      - .address_space:  global
        .offset:         8
        .size:           8
        .value_kind:     global_buffer
      - .offset:         16
        .size:           4
        .value_kind:     by_value
    .group_segment_fixed_size: 324
    .kernarg_segment_align: 8
    .kernarg_segment_size: 20
    .language:       OpenCL C
    .language_version:
      - 2
      - 0
    .max_flat_workgroup_size: 162
    .name:           _Z19reduce_valid_kernelILj162ELN6hipcub20BlockReduceAlgorithmE2EsEvPT1_S3_j
    .private_segment_fixed_size: 0
    .sgpr_count:     20
    .sgpr_spill_count: 0
    .symbol:         _Z19reduce_valid_kernelILj162ELN6hipcub20BlockReduceAlgorithmE2EsEvPT1_S3_j.kd
    .uniform_work_group_size: 1
    .uses_dynamic_stack: false
    .vgpr_count:     9
    .vgpr_spill_count: 0
    .wavefront_size: 64
  - .args:
      - .address_space:  global
        .offset:         0
        .size:           8
        .value_kind:     global_buffer
      - .address_space:  global
        .offset:         8
        .size:           8
        .value_kind:     global_buffer
      - .offset:         16
        .size:           4
        .value_kind:     by_value
    .group_segment_fixed_size: 296
    .kernarg_segment_align: 8
    .kernarg_segment_size: 20
    .language:       OpenCL C
    .language_version:
      - 2
      - 0
    .max_flat_workgroup_size: 37
    .name:           _Z19reduce_valid_kernelILj37ELN6hipcub20BlockReduceAlgorithmE2ElEvPT1_S3_j
    .private_segment_fixed_size: 0
    .sgpr_count:     14
    .sgpr_spill_count: 0
    .symbol:         _Z19reduce_valid_kernelILj37ELN6hipcub20BlockReduceAlgorithmE2ElEvPT1_S3_j.kd
    .uniform_work_group_size: 1
    .uses_dynamic_stack: false
    .vgpr_count:     9
    .vgpr_spill_count: 0
    .wavefront_size: 64
  - .args:
      - .address_space:  global
        .offset:         0
        .size:           8
        .value_kind:     global_buffer
      - .address_space:  global
        .offset:         8
        .size:           8
        .value_kind:     global_buffer
      - .offset:         16
        .size:           4
        .value_kind:     by_value
    .group_segment_fixed_size: 520
    .kernarg_segment_align: 8
    .kernarg_segment_size: 20
    .language:       OpenCL C
    .language_version:
      - 2
      - 0
    .max_flat_workgroup_size: 65
    .name:           _Z19reduce_valid_kernelILj65ELN6hipcub20BlockReduceAlgorithmE2EmEvPT1_S3_j
    .private_segment_fixed_size: 0
    .sgpr_count:     14
    .sgpr_spill_count: 0
    .symbol:         _Z19reduce_valid_kernelILj65ELN6hipcub20BlockReduceAlgorithmE2EmEvPT1_S3_j.kd
    .uniform_work_group_size: 1
    .uses_dynamic_stack: false
    .vgpr_count:     9
    .vgpr_spill_count: 0
    .wavefront_size: 64
  - .args:
      - .address_space:  global
        .offset:         0
        .size:           8
        .value_kind:     global_buffer
      - .address_space:  global
        .offset:         8
        .size:           8
        .value_kind:     global_buffer
      - .offset:         16
        .size:           4
        .value_kind:     by_value
    .group_segment_fixed_size: 4096
    .kernarg_segment_align: 8
    .kernarg_segment_size: 20
    .language:       OpenCL C
    .language_version:
      - 2
      - 0
    .max_flat_workgroup_size: 1024
    .name:           _Z19reduce_valid_kernelILj1024ELN6hipcub20BlockReduceAlgorithmE2EiEvPT1_S3_j
    .private_segment_fixed_size: 0
    .sgpr_count:     14
    .sgpr_spill_count: 0
    .symbol:         _Z19reduce_valid_kernelILj1024ELN6hipcub20BlockReduceAlgorithmE2EiEvPT1_S3_j.kd
    .uniform_work_group_size: 1
    .uses_dynamic_stack: false
    .vgpr_count:     6
    .vgpr_spill_count: 0
    .wavefront_size: 64
  - .args:
      - .address_space:  global
        .offset:         0
        .size:           8
        .value_kind:     global_buffer
      - .address_space:  global
        .offset:         8
        .size:           8
        .value_kind:     global_buffer
      - .offset:         16
        .size:           4
        .value_kind:     by_value
    .group_segment_fixed_size: 2048
    .kernarg_segment_align: 8
    .kernarg_segment_size: 20
    .language:       OpenCL C
    .language_version:
      - 2
      - 0
    .max_flat_workgroup_size: 512
    .name:           _Z19reduce_valid_kernelILj512ELN6hipcub20BlockReduceAlgorithmE2EiEvPT1_S3_j
    .private_segment_fixed_size: 0
    .sgpr_count:     14
    .sgpr_spill_count: 0
    .symbol:         _Z19reduce_valid_kernelILj512ELN6hipcub20BlockReduceAlgorithmE2EiEvPT1_S3_j.kd
    .uniform_work_group_size: 1
    .uses_dynamic_stack: false
    .vgpr_count:     6
    .vgpr_spill_count: 0
    .wavefront_size: 64
  - .args:
      - .address_space:  global
        .offset:         0
        .size:           8
        .value_kind:     global_buffer
      - .address_space:  global
        .offset:         8
        .size:           8
        .value_kind:     global_buffer
      - .offset:         16
        .size:           4
        .value_kind:     by_value
    .group_segment_fixed_size: 1024
    .kernarg_segment_align: 8
    .kernarg_segment_size: 20
    .language:       OpenCL C
    .language_version:
      - 2
      - 0
    .max_flat_workgroup_size: 256
    .name:           _Z19reduce_valid_kernelILj256ELN6hipcub20BlockReduceAlgorithmE2EiEvPT1_S3_j
    .private_segment_fixed_size: 0
    .sgpr_count:     14
    .sgpr_spill_count: 0
    .symbol:         _Z19reduce_valid_kernelILj256ELN6hipcub20BlockReduceAlgorithmE2EiEvPT1_S3_j.kd
    .uniform_work_group_size: 1
    .uses_dynamic_stack: false
    .vgpr_count:     6
    .vgpr_spill_count: 0
    .wavefront_size: 64
  - .args:
      - .address_space:  global
        .offset:         0
        .size:           8
        .value_kind:     global_buffer
      - .address_space:  global
        .offset:         8
        .size:           8
        .value_kind:     global_buffer
      - .offset:         16
        .size:           4
        .value_kind:     by_value
    .group_segment_fixed_size: 768
    .kernarg_segment_align: 8
    .kernarg_segment_size: 20
    .language:       OpenCL C
    .language_version:
      - 2
      - 0
    .max_flat_workgroup_size: 192
    .name:           _Z19reduce_valid_kernelILj192ELN6hipcub20BlockReduceAlgorithmE2EiEvPT1_S3_j
    .private_segment_fixed_size: 0
    .sgpr_count:     14
    .sgpr_spill_count: 0
    .symbol:         _Z19reduce_valid_kernelILj192ELN6hipcub20BlockReduceAlgorithmE2EiEvPT1_S3_j.kd
    .uniform_work_group_size: 1
    .uses_dynamic_stack: false
    .vgpr_count:     6
    .vgpr_spill_count: 0
    .wavefront_size: 64
  - .args:
      - .address_space:  global
        .offset:         0
        .size:           8
        .value_kind:     global_buffer
      - .address_space:  global
        .offset:         8
        .size:           8
        .value_kind:     global_buffer
      - .offset:         16
        .size:           4
        .value_kind:     by_value
    .group_segment_fixed_size: 512
    .kernarg_segment_align: 8
    .kernarg_segment_size: 20
    .language:       OpenCL C
    .language_version:
      - 2
      - 0
    .max_flat_workgroup_size: 128
    .name:           _Z19reduce_valid_kernelILj128ELN6hipcub20BlockReduceAlgorithmE2EiEvPT1_S3_j
    .private_segment_fixed_size: 0
    .sgpr_count:     14
    .sgpr_spill_count: 0
    .symbol:         _Z19reduce_valid_kernelILj128ELN6hipcub20BlockReduceAlgorithmE2EiEvPT1_S3_j.kd
    .uniform_work_group_size: 1
    .uses_dynamic_stack: false
    .vgpr_count:     6
    .vgpr_spill_count: 0
    .wavefront_size: 64
  - .args:
      - .address_space:  global
        .offset:         0
        .size:           8
        .value_kind:     global_buffer
      - .address_space:  global
        .offset:         8
        .size:           8
        .value_kind:     global_buffer
      - .offset:         16
        .size:           4
        .value_kind:     by_value
    .group_segment_fixed_size: 256
    .kernarg_segment_align: 8
    .kernarg_segment_size: 20
    .language:       OpenCL C
    .language_version:
      - 2
      - 0
    .max_flat_workgroup_size: 64
    .name:           _Z19reduce_valid_kernelILj64ELN6hipcub20BlockReduceAlgorithmE2EiEvPT1_S3_j
    .private_segment_fixed_size: 0
    .sgpr_count:     14
    .sgpr_spill_count: 0
    .symbol:         _Z19reduce_valid_kernelILj64ELN6hipcub20BlockReduceAlgorithmE2EiEvPT1_S3_j.kd
    .uniform_work_group_size: 1
    .uses_dynamic_stack: false
    .vgpr_count:     6
    .vgpr_spill_count: 0
    .wavefront_size: 64
  - .args:
      - .address_space:  global
        .offset:         0
        .size:           8
        .value_kind:     global_buffer
      - .address_space:  global
        .offset:         8
        .size:           8
        .value_kind:     global_buffer
      - .offset:         16
        .size:           4
        .value_kind:     by_value
    .group_segment_fixed_size: 377
    .kernarg_segment_align: 8
    .kernarg_segment_size: 20
    .language:       OpenCL C
    .language_version:
      - 2
      - 0
    .max_flat_workgroup_size: 377
    .name:           _Z19reduce_valid_kernelILj377ELN6hipcub20BlockReduceAlgorithmE1EhEvPT1_S3_j
    .private_segment_fixed_size: 0
    .sgpr_count:     16
    .sgpr_spill_count: 0
    .symbol:         _Z19reduce_valid_kernelILj377ELN6hipcub20BlockReduceAlgorithmE1EhEvPT1_S3_j.kd
    .uniform_work_group_size: 1
    .uses_dynamic_stack: false
    .vgpr_count:     9
    .vgpr_spill_count: 0
    .wavefront_size: 64
  - .args:
      - .address_space:  global
        .offset:         0
        .size:           8
        .value_kind:     global_buffer
      - .address_space:  global
        .offset:         8
        .size:           8
        .value_kind:     global_buffer
      - .offset:         16
        .size:           4
        .value_kind:     by_value
    .group_segment_fixed_size: 1508
    .kernarg_segment_align: 8
    .kernarg_segment_size: 20
    .language:       OpenCL C
    .language_version:
      - 2
      - 0
    .max_flat_workgroup_size: 377
    .name:           _Z19reduce_valid_kernelILj377ELN6hipcub20BlockReduceAlgorithmE1EiEvPT1_S3_j
    .private_segment_fixed_size: 0
    .sgpr_count:     12
    .sgpr_spill_count: 0
    .symbol:         _Z19reduce_valid_kernelILj377ELN6hipcub20BlockReduceAlgorithmE1EiEvPT1_S3_j.kd
    .uniform_work_group_size: 1
    .uses_dynamic_stack: false
    .vgpr_count:     6
    .vgpr_spill_count: 0
    .wavefront_size: 64
  - .args:
      - .address_space:  global
        .offset:         0
        .size:           8
        .value_kind:     global_buffer
      - .address_space:  global
        .offset:         8
        .size:           8
        .value_kind:     global_buffer
      - .offset:         16
        .size:           4
        .value_kind:     by_value
    .group_segment_fixed_size: 1020
    .kernarg_segment_align: 8
    .kernarg_segment_size: 20
    .language:       OpenCL C
    .language_version:
      - 2
      - 0
    .max_flat_workgroup_size: 255
    .name:           _Z19reduce_valid_kernelILj255ELN6hipcub20BlockReduceAlgorithmE1EjEvPT1_S3_j
    .private_segment_fixed_size: 0
    .sgpr_count:     12
    .sgpr_spill_count: 0
    .symbol:         _Z19reduce_valid_kernelILj255ELN6hipcub20BlockReduceAlgorithmE1EjEvPT1_S3_j.kd
    .uniform_work_group_size: 1
    .uses_dynamic_stack: false
    .vgpr_count:     6
    .vgpr_spill_count: 0
    .wavefront_size: 64
  - .args:
      - .address_space:  global
        .offset:         0
        .size:           8
        .value_kind:     global_buffer
      - .address_space:  global
        .offset:         8
        .size:           8
        .value_kind:     global_buffer
      - .offset:         16
        .size:           4
        .value_kind:     by_value
    .group_segment_fixed_size: 324
    .kernarg_segment_align: 8
    .kernarg_segment_size: 20
    .language:       OpenCL C
    .language_version:
      - 2
      - 0
    .max_flat_workgroup_size: 162
    .name:           _Z19reduce_valid_kernelILj162ELN6hipcub20BlockReduceAlgorithmE1EsEvPT1_S3_j
    .private_segment_fixed_size: 0
    .sgpr_count:     16
    .sgpr_spill_count: 0
    .symbol:         _Z19reduce_valid_kernelILj162ELN6hipcub20BlockReduceAlgorithmE1EsEvPT1_S3_j.kd
    .uniform_work_group_size: 1
    .uses_dynamic_stack: false
    .vgpr_count:     8
    .vgpr_spill_count: 0
    .wavefront_size: 64
  - .args:
      - .address_space:  global
        .offset:         0
        .size:           8
        .value_kind:     global_buffer
      - .address_space:  global
        .offset:         8
        .size:           8
        .value_kind:     global_buffer
      - .offset:         16
        .size:           4
        .value_kind:     by_value
    .group_segment_fixed_size: 296
    .kernarg_segment_align: 8
    .kernarg_segment_size: 20
    .language:       OpenCL C
    .language_version:
      - 2
      - 0
    .max_flat_workgroup_size: 37
    .name:           _Z19reduce_valid_kernelILj37ELN6hipcub20BlockReduceAlgorithmE1ElEvPT1_S3_j
    .private_segment_fixed_size: 0
    .sgpr_count:     12
    .sgpr_spill_count: 0
    .symbol:         _Z19reduce_valid_kernelILj37ELN6hipcub20BlockReduceAlgorithmE1ElEvPT1_S3_j.kd
    .uniform_work_group_size: 1
    .uses_dynamic_stack: false
    .vgpr_count:     9
    .vgpr_spill_count: 0
    .wavefront_size: 64
  - .args:
      - .address_space:  global
        .offset:         0
        .size:           8
        .value_kind:     global_buffer
      - .address_space:  global
        .offset:         8
        .size:           8
        .value_kind:     global_buffer
      - .offset:         16
        .size:           4
        .value_kind:     by_value
    .group_segment_fixed_size: 520
    .kernarg_segment_align: 8
    .kernarg_segment_size: 20
    .language:       OpenCL C
    .language_version:
      - 2
      - 0
    .max_flat_workgroup_size: 65
    .name:           _Z19reduce_valid_kernelILj65ELN6hipcub20BlockReduceAlgorithmE1EmEvPT1_S3_j
    .private_segment_fixed_size: 0
    .sgpr_count:     12
    .sgpr_spill_count: 0
    .symbol:         _Z19reduce_valid_kernelILj65ELN6hipcub20BlockReduceAlgorithmE1EmEvPT1_S3_j.kd
    .uniform_work_group_size: 1
    .uses_dynamic_stack: false
    .vgpr_count:     9
    .vgpr_spill_count: 0
    .wavefront_size: 64
  - .args:
      - .address_space:  global
        .offset:         0
        .size:           8
        .value_kind:     global_buffer
      - .address_space:  global
        .offset:         8
        .size:           8
        .value_kind:     global_buffer
      - .offset:         16
        .size:           4
        .value_kind:     by_value
    .group_segment_fixed_size: 4096
    .kernarg_segment_align: 8
    .kernarg_segment_size: 20
    .language:       OpenCL C
    .language_version:
      - 2
      - 0
    .max_flat_workgroup_size: 1024
    .name:           _Z19reduce_valid_kernelILj1024ELN6hipcub20BlockReduceAlgorithmE1EiEvPT1_S3_j
    .private_segment_fixed_size: 0
    .sgpr_count:     12
    .sgpr_spill_count: 0
    .symbol:         _Z19reduce_valid_kernelILj1024ELN6hipcub20BlockReduceAlgorithmE1EiEvPT1_S3_j.kd
    .uniform_work_group_size: 1
    .uses_dynamic_stack: false
    .vgpr_count:     6
    .vgpr_spill_count: 0
    .wavefront_size: 64
  - .args:
      - .address_space:  global
        .offset:         0
        .size:           8
        .value_kind:     global_buffer
      - .address_space:  global
        .offset:         8
        .size:           8
        .value_kind:     global_buffer
      - .offset:         16
        .size:           4
        .value_kind:     by_value
    .group_segment_fixed_size: 2048
    .kernarg_segment_align: 8
    .kernarg_segment_size: 20
    .language:       OpenCL C
    .language_version:
      - 2
      - 0
    .max_flat_workgroup_size: 512
    .name:           _Z19reduce_valid_kernelILj512ELN6hipcub20BlockReduceAlgorithmE1EiEvPT1_S3_j
    .private_segment_fixed_size: 0
    .sgpr_count:     12
    .sgpr_spill_count: 0
    .symbol:         _Z19reduce_valid_kernelILj512ELN6hipcub20BlockReduceAlgorithmE1EiEvPT1_S3_j.kd
    .uniform_work_group_size: 1
    .uses_dynamic_stack: false
    .vgpr_count:     6
    .vgpr_spill_count: 0
    .wavefront_size: 64
  - .args:
      - .address_space:  global
        .offset:         0
        .size:           8
        .value_kind:     global_buffer
      - .address_space:  global
        .offset:         8
        .size:           8
        .value_kind:     global_buffer
      - .offset:         16
        .size:           4
        .value_kind:     by_value
    .group_segment_fixed_size: 1024
    .kernarg_segment_align: 8
    .kernarg_segment_size: 20
    .language:       OpenCL C
    .language_version:
      - 2
      - 0
    .max_flat_workgroup_size: 256
    .name:           _Z19reduce_valid_kernelILj256ELN6hipcub20BlockReduceAlgorithmE1EiEvPT1_S3_j
    .private_segment_fixed_size: 0
    .sgpr_count:     12
    .sgpr_spill_count: 0
    .symbol:         _Z19reduce_valid_kernelILj256ELN6hipcub20BlockReduceAlgorithmE1EiEvPT1_S3_j.kd
    .uniform_work_group_size: 1
    .uses_dynamic_stack: false
    .vgpr_count:     6
    .vgpr_spill_count: 0
    .wavefront_size: 64
  - .args:
      - .address_space:  global
        .offset:         0
        .size:           8
        .value_kind:     global_buffer
      - .address_space:  global
        .offset:         8
        .size:           8
        .value_kind:     global_buffer
      - .offset:         16
        .size:           4
        .value_kind:     by_value
    .group_segment_fixed_size: 768
    .kernarg_segment_align: 8
    .kernarg_segment_size: 20
    .language:       OpenCL C
    .language_version:
      - 2
      - 0
    .max_flat_workgroup_size: 192
    .name:           _Z19reduce_valid_kernelILj192ELN6hipcub20BlockReduceAlgorithmE1EiEvPT1_S3_j
    .private_segment_fixed_size: 0
    .sgpr_count:     12
    .sgpr_spill_count: 0
    .symbol:         _Z19reduce_valid_kernelILj192ELN6hipcub20BlockReduceAlgorithmE1EiEvPT1_S3_j.kd
    .uniform_work_group_size: 1
    .uses_dynamic_stack: false
    .vgpr_count:     6
    .vgpr_spill_count: 0
    .wavefront_size: 64
  - .args:
      - .address_space:  global
        .offset:         0
        .size:           8
        .value_kind:     global_buffer
      - .address_space:  global
        .offset:         8
        .size:           8
        .value_kind:     global_buffer
      - .offset:         16
        .size:           4
        .value_kind:     by_value
    .group_segment_fixed_size: 512
    .kernarg_segment_align: 8
    .kernarg_segment_size: 20
    .language:       OpenCL C
    .language_version:
      - 2
      - 0
    .max_flat_workgroup_size: 128
    .name:           _Z19reduce_valid_kernelILj128ELN6hipcub20BlockReduceAlgorithmE1EiEvPT1_S3_j
    .private_segment_fixed_size: 0
    .sgpr_count:     12
    .sgpr_spill_count: 0
    .symbol:         _Z19reduce_valid_kernelILj128ELN6hipcub20BlockReduceAlgorithmE1EiEvPT1_S3_j.kd
    .uniform_work_group_size: 1
    .uses_dynamic_stack: false
    .vgpr_count:     6
    .vgpr_spill_count: 0
    .wavefront_size: 64
  - .args:
      - .address_space:  global
        .offset:         0
        .size:           8
        .value_kind:     global_buffer
      - .address_space:  global
        .offset:         8
        .size:           8
        .value_kind:     global_buffer
      - .offset:         16
        .size:           4
        .value_kind:     by_value
    .group_segment_fixed_size: 256
    .kernarg_segment_align: 8
    .kernarg_segment_size: 20
    .language:       OpenCL C
    .language_version:
      - 2
      - 0
    .max_flat_workgroup_size: 64
    .name:           _Z19reduce_valid_kernelILj64ELN6hipcub20BlockReduceAlgorithmE1EiEvPT1_S3_j
    .private_segment_fixed_size: 0
    .sgpr_count:     12
    .sgpr_spill_count: 0
    .symbol:         _Z19reduce_valid_kernelILj64ELN6hipcub20BlockReduceAlgorithmE1EiEvPT1_S3_j.kd
    .uniform_work_group_size: 1
    .uses_dynamic_stack: false
    .vgpr_count:     6
    .vgpr_spill_count: 0
    .wavefront_size: 64
  - .args:
      - .address_space:  global
        .offset:         0
        .size:           8
        .value_kind:     global_buffer
      - .address_space:  global
        .offset:         8
        .size:           8
        .value_kind:     global_buffer
      - .offset:         16
        .size:           4
        .value_kind:     by_value
    .group_segment_fixed_size: 48
    .kernarg_segment_align: 8
    .kernarg_segment_size: 20
    .language:       OpenCL C
    .language_version:
      - 2
      - 0
    .max_flat_workgroup_size: 377
    .name:           _Z19reduce_valid_kernelILj377ELN6hipcub20BlockReduceAlgorithmE0ElEvPT1_S3_j
    .private_segment_fixed_size: 0
    .sgpr_count:     12
    .sgpr_spill_count: 0
    .symbol:         _Z19reduce_valid_kernelILj377ELN6hipcub20BlockReduceAlgorithmE0ElEvPT1_S3_j.kd
    .uniform_work_group_size: 1
    .uses_dynamic_stack: false
    .vgpr_count:     10
    .vgpr_spill_count: 0
    .wavefront_size: 64
  - .args:
      - .address_space:  global
        .offset:         0
        .size:           8
        .value_kind:     global_buffer
      - .address_space:  global
        .offset:         8
        .size:           8
        .value_kind:     global_buffer
      - .offset:         16
        .size:           4
        .value_kind:     by_value
    .group_segment_fixed_size: 32
    .kernarg_segment_align: 8
    .kernarg_segment_size: 20
    .language:       OpenCL C
    .language_version:
      - 2
      - 0
    .max_flat_workgroup_size: 256
    .name:           _Z19reduce_valid_kernelILj256ELN6hipcub20BlockReduceAlgorithmE0ElEvPT1_S3_j
    .private_segment_fixed_size: 0
    .sgpr_count:     12
    .sgpr_spill_count: 0
    .symbol:         _Z19reduce_valid_kernelILj256ELN6hipcub20BlockReduceAlgorithmE0ElEvPT1_S3_j.kd
    .uniform_work_group_size: 1
    .uses_dynamic_stack: false
    .vgpr_count:     10
    .vgpr_spill_count: 0
    .wavefront_size: 64
  - .args:
      - .address_space:  global
        .offset:         0
        .size:           8
        .value_kind:     global_buffer
      - .address_space:  global
        .offset:         8
        .size:           8
        .value_kind:     global_buffer
      - .offset:         16
        .size:           4
        .value_kind:     by_value
    .group_segment_fixed_size: 0
    .kernarg_segment_align: 8
    .kernarg_segment_size: 20
    .language:       OpenCL C
    .language_version:
      - 2
      - 0
    .max_flat_workgroup_size: 64
    .name:           _Z19reduce_valid_kernelILj64ELN6hipcub20BlockReduceAlgorithmE0ElEvPT1_S3_j
    .private_segment_fixed_size: 0
    .sgpr_count:     13
    .sgpr_spill_count: 0
    .symbol:         _Z19reduce_valid_kernelILj64ELN6hipcub20BlockReduceAlgorithmE0ElEvPT1_S3_j.kd
    .uniform_work_group_size: 1
    .uses_dynamic_stack: false
    .vgpr_count:     9
    .vgpr_spill_count: 0
    .wavefront_size: 64
  - .args:
      - .address_space:  global
        .offset:         0
        .size:           8
        .value_kind:     global_buffer
      - .address_space:  global
        .offset:         8
        .size:           8
        .value_kind:     global_buffer
      - .offset:         16
        .size:           4
        .value_kind:     by_value
    .group_segment_fixed_size: 24
    .kernarg_segment_align: 8
    .kernarg_segment_size: 20
    .language:       OpenCL C
    .language_version:
      - 2
      - 0
    .max_flat_workgroup_size: 377
    .name:           _Z19reduce_valid_kernelILj377ELN6hipcub20BlockReduceAlgorithmE0EjEvPT1_S3_j
    .private_segment_fixed_size: 0
    .sgpr_count:     12
    .sgpr_spill_count: 0
    .symbol:         _Z19reduce_valid_kernelILj377ELN6hipcub20BlockReduceAlgorithmE0EjEvPT1_S3_j.kd
    .uniform_work_group_size: 1
    .uses_dynamic_stack: false
    .vgpr_count:     11
    .vgpr_spill_count: 0
    .wavefront_size: 64
  - .args:
      - .address_space:  global
        .offset:         0
        .size:           8
        .value_kind:     global_buffer
      - .address_space:  global
        .offset:         8
        .size:           8
        .value_kind:     global_buffer
      - .offset:         16
        .size:           4
        .value_kind:     by_value
    .group_segment_fixed_size: 16
    .kernarg_segment_align: 8
    .kernarg_segment_size: 20
    .language:       OpenCL C
    .language_version:
      - 2
      - 0
    .max_flat_workgroup_size: 256
    .name:           _Z19reduce_valid_kernelILj256ELN6hipcub20BlockReduceAlgorithmE0EjEvPT1_S3_j
    .private_segment_fixed_size: 0
    .sgpr_count:     12
    .sgpr_spill_count: 0
    .symbol:         _Z19reduce_valid_kernelILj256ELN6hipcub20BlockReduceAlgorithmE0EjEvPT1_S3_j.kd
    .uniform_work_group_size: 1
    .uses_dynamic_stack: false
    .vgpr_count:     11
    .vgpr_spill_count: 0
    .wavefront_size: 64
  - .args:
      - .address_space:  global
        .offset:         0
        .size:           8
        .value_kind:     global_buffer
      - .address_space:  global
        .offset:         8
        .size:           8
        .value_kind:     global_buffer
      - .offset:         16
        .size:           4
        .value_kind:     by_value
    .group_segment_fixed_size: 0
    .kernarg_segment_align: 8
    .kernarg_segment_size: 20
    .language:       OpenCL C
    .language_version:
      - 2
      - 0
    .max_flat_workgroup_size: 64
    .name:           _Z19reduce_valid_kernelILj64ELN6hipcub20BlockReduceAlgorithmE0EjEvPT1_S3_j
    .private_segment_fixed_size: 0
    .sgpr_count:     13
    .sgpr_spill_count: 0
    .symbol:         _Z19reduce_valid_kernelILj64ELN6hipcub20BlockReduceAlgorithmE0EjEvPT1_S3_j.kd
    .uniform_work_group_size: 1
    .uses_dynamic_stack: false
    .vgpr_count:     11
    .vgpr_spill_count: 0
    .wavefront_size: 64
  - .args:
      - .address_space:  global
        .offset:         0
        .size:           8
        .value_kind:     global_buffer
      - .address_space:  global
        .offset:         8
        .size:           8
        .value_kind:     global_buffer
      - .offset:         16
        .size:           4
        .value_kind:     by_value
    .group_segment_fixed_size: 16
    .kernarg_segment_align: 8
    .kernarg_segment_size: 20
    .language:       OpenCL C
    .language_version:
      - 2
      - 0
    .max_flat_workgroup_size: 255
    .name:           _Z19reduce_valid_kernelILj255ELN6hipcub20BlockReduceAlgorithmE0EiEvPT1_S3_j
    .private_segment_fixed_size: 0
    .sgpr_count:     12
    .sgpr_spill_count: 0
    .symbol:         _Z19reduce_valid_kernelILj255ELN6hipcub20BlockReduceAlgorithmE0EiEvPT1_S3_j.kd
    .uniform_work_group_size: 1
    .uses_dynamic_stack: false
    .vgpr_count:     11
    .vgpr_spill_count: 0
    .wavefront_size: 64
  - .args:
      - .address_space:  global
        .offset:         0
        .size:           8
        .value_kind:     global_buffer
      - .address_space:  global
        .offset:         8
        .size:           8
        .value_kind:     global_buffer
      - .offset:         16
        .size:           4
        .value_kind:     by_value
    .group_segment_fixed_size: 12
    .kernarg_segment_align: 8
    .kernarg_segment_size: 20
    .language:       OpenCL C
    .language_version:
      - 2
      - 0
    .max_flat_workgroup_size: 162
    .name:           _Z19reduce_valid_kernelILj162ELN6hipcub20BlockReduceAlgorithmE0EiEvPT1_S3_j
    .private_segment_fixed_size: 0
    .sgpr_count:     12
    .sgpr_spill_count: 0
    .symbol:         _Z19reduce_valid_kernelILj162ELN6hipcub20BlockReduceAlgorithmE0EiEvPT1_S3_j.kd
    .uniform_work_group_size: 1
    .uses_dynamic_stack: false
    .vgpr_count:     11
    .vgpr_spill_count: 0
    .wavefront_size: 64
  - .args:
      - .address_space:  global
        .offset:         0
        .size:           8
        .value_kind:     global_buffer
      - .address_space:  global
        .offset:         8
        .size:           8
        .value_kind:     global_buffer
      - .offset:         16
        .size:           4
        .value_kind:     by_value
    .group_segment_fixed_size: 12
    .kernarg_segment_align: 8
    .kernarg_segment_size: 20
    .language:       OpenCL C
    .language_version:
      - 2
      - 0
    .max_flat_workgroup_size: 129
    .name:           _Z19reduce_valid_kernelILj129ELN6hipcub20BlockReduceAlgorithmE0EiEvPT1_S3_j
    .private_segment_fixed_size: 0
    .sgpr_count:     12
    .sgpr_spill_count: 0
    .symbol:         _Z19reduce_valid_kernelILj129ELN6hipcub20BlockReduceAlgorithmE0EiEvPT1_S3_j.kd
    .uniform_work_group_size: 1
    .uses_dynamic_stack: false
    .vgpr_count:     11
    .vgpr_spill_count: 0
    .wavefront_size: 64
  - .args:
      - .address_space:  global
        .offset:         0
        .size:           8
        .value_kind:     global_buffer
      - .address_space:  global
        .offset:         8
        .size:           8
        .value_kind:     global_buffer
      - .offset:         16
        .size:           4
        .value_kind:     by_value
    .group_segment_fixed_size: 0
    .kernarg_segment_align: 8
    .kernarg_segment_size: 20
    .language:       OpenCL C
    .language_version:
      - 2
      - 0
    .max_flat_workgroup_size: 37
    .name:           _Z19reduce_valid_kernelILj37ELN6hipcub20BlockReduceAlgorithmE0EiEvPT1_S3_j
    .private_segment_fixed_size: 0
    .sgpr_count:     13
    .sgpr_spill_count: 0
    .symbol:         _Z19reduce_valid_kernelILj37ELN6hipcub20BlockReduceAlgorithmE0EiEvPT1_S3_j.kd
    .uniform_work_group_size: 1
    .uses_dynamic_stack: false
    .vgpr_count:     11
    .vgpr_spill_count: 0
    .wavefront_size: 64
  - .args:
      - .address_space:  global
        .offset:         0
        .size:           8
        .value_kind:     global_buffer
      - .address_space:  global
        .offset:         8
        .size:           8
        .value_kind:     global_buffer
      - .offset:         16
        .size:           4
        .value_kind:     by_value
    .group_segment_fixed_size: 8
    .kernarg_segment_align: 8
    .kernarg_segment_size: 20
    .language:       OpenCL C
    .language_version:
      - 2
      - 0
    .max_flat_workgroup_size: 65
    .name:           _Z19reduce_valid_kernelILj65ELN6hipcub20BlockReduceAlgorithmE0EiEvPT1_S3_j
    .private_segment_fixed_size: 0
    .sgpr_count:     12
    .sgpr_spill_count: 0
    .symbol:         _Z19reduce_valid_kernelILj65ELN6hipcub20BlockReduceAlgorithmE0EiEvPT1_S3_j.kd
    .uniform_work_group_size: 1
    .uses_dynamic_stack: false
    .vgpr_count:     12
    .vgpr_spill_count: 0
    .wavefront_size: 64
  - .args:
      - .address_space:  global
        .offset:         0
        .size:           8
        .value_kind:     global_buffer
      - .address_space:  global
        .offset:         8
        .size:           8
        .value_kind:     global_buffer
      - .offset:         16
        .size:           4
        .value_kind:     by_value
    .group_segment_fixed_size: 64
    .kernarg_segment_align: 8
    .kernarg_segment_size: 20
    .language:       OpenCL C
    .language_version:
      - 2
      - 0
    .max_flat_workgroup_size: 1024
    .name:           _Z19reduce_valid_kernelILj1024ELN6hipcub20BlockReduceAlgorithmE0EiEvPT1_S3_j
    .private_segment_fixed_size: 0
    .sgpr_count:     12
    .sgpr_spill_count: 0
    .symbol:         _Z19reduce_valid_kernelILj1024ELN6hipcub20BlockReduceAlgorithmE0EiEvPT1_S3_j.kd
    .uniform_work_group_size: 1
    .uses_dynamic_stack: false
    .vgpr_count:     11
    .vgpr_spill_count: 0
    .wavefront_size: 64
  - .args:
      - .address_space:  global
        .offset:         0
        .size:           8
        .value_kind:     global_buffer
      - .address_space:  global
        .offset:         8
        .size:           8
        .value_kind:     global_buffer
      - .offset:         16
        .size:           4
        .value_kind:     by_value
    .group_segment_fixed_size: 32
    .kernarg_segment_align: 8
    .kernarg_segment_size: 20
    .language:       OpenCL C
    .language_version:
      - 2
      - 0
    .max_flat_workgroup_size: 512
    .name:           _Z19reduce_valid_kernelILj512ELN6hipcub20BlockReduceAlgorithmE0EiEvPT1_S3_j
    .private_segment_fixed_size: 0
    .sgpr_count:     12
    .sgpr_spill_count: 0
    .symbol:         _Z19reduce_valid_kernelILj512ELN6hipcub20BlockReduceAlgorithmE0EiEvPT1_S3_j.kd
    .uniform_work_group_size: 1
    .uses_dynamic_stack: false
    .vgpr_count:     11
    .vgpr_spill_count: 0
    .wavefront_size: 64
  - .args:
      - .address_space:  global
        .offset:         0
        .size:           8
        .value_kind:     global_buffer
      - .address_space:  global
        .offset:         8
        .size:           8
        .value_kind:     global_buffer
      - .offset:         16
        .size:           4
        .value_kind:     by_value
    .group_segment_fixed_size: 16
    .kernarg_segment_align: 8
    .kernarg_segment_size: 20
    .language:       OpenCL C
    .language_version:
      - 2
      - 0
    .max_flat_workgroup_size: 256
    .name:           _Z19reduce_valid_kernelILj256ELN6hipcub20BlockReduceAlgorithmE0EiEvPT1_S3_j
    .private_segment_fixed_size: 0
    .sgpr_count:     12
    .sgpr_spill_count: 0
    .symbol:         _Z19reduce_valid_kernelILj256ELN6hipcub20BlockReduceAlgorithmE0EiEvPT1_S3_j.kd
    .uniform_work_group_size: 1
    .uses_dynamic_stack: false
    .vgpr_count:     11
    .vgpr_spill_count: 0
    .wavefront_size: 64
  - .args:
      - .address_space:  global
        .offset:         0
        .size:           8
        .value_kind:     global_buffer
      - .address_space:  global
        .offset:         8
        .size:           8
        .value_kind:     global_buffer
      - .offset:         16
        .size:           4
        .value_kind:     by_value
    .group_segment_fixed_size: 12
    .kernarg_segment_align: 8
    .kernarg_segment_size: 20
    .language:       OpenCL C
    .language_version:
      - 2
      - 0
    .max_flat_workgroup_size: 192
    .name:           _Z19reduce_valid_kernelILj192ELN6hipcub20BlockReduceAlgorithmE0EiEvPT1_S3_j
    .private_segment_fixed_size: 0
    .sgpr_count:     12
    .sgpr_spill_count: 0
    .symbol:         _Z19reduce_valid_kernelILj192ELN6hipcub20BlockReduceAlgorithmE0EiEvPT1_S3_j.kd
    .uniform_work_group_size: 1
    .uses_dynamic_stack: false
    .vgpr_count:     11
    .vgpr_spill_count: 0
    .wavefront_size: 64
  - .args:
      - .address_space:  global
        .offset:         0
        .size:           8
        .value_kind:     global_buffer
      - .address_space:  global
        .offset:         8
        .size:           8
        .value_kind:     global_buffer
      - .offset:         16
        .size:           4
        .value_kind:     by_value
    .group_segment_fixed_size: 8
    .kernarg_segment_align: 8
    .kernarg_segment_size: 20
    .language:       OpenCL C
    .language_version:
      - 2
      - 0
    .max_flat_workgroup_size: 128
    .name:           _Z19reduce_valid_kernelILj128ELN6hipcub20BlockReduceAlgorithmE0EiEvPT1_S3_j
    .private_segment_fixed_size: 0
    .sgpr_count:     12
    .sgpr_spill_count: 0
    .symbol:         _Z19reduce_valid_kernelILj128ELN6hipcub20BlockReduceAlgorithmE0EiEvPT1_S3_j.kd
    .uniform_work_group_size: 1
    .uses_dynamic_stack: false
    .vgpr_count:     12
    .vgpr_spill_count: 0
    .wavefront_size: 64
  - .args:
      - .address_space:  global
        .offset:         0
        .size:           8
        .value_kind:     global_buffer
      - .address_space:  global
        .offset:         8
        .size:           8
        .value_kind:     global_buffer
      - .offset:         16
        .size:           4
        .value_kind:     by_value
    .group_segment_fixed_size: 0
    .kernarg_segment_align: 8
    .kernarg_segment_size: 20
    .language:       OpenCL C
    .language_version:
      - 2
      - 0
    .max_flat_workgroup_size: 64
    .name:           _Z19reduce_valid_kernelILj64ELN6hipcub20BlockReduceAlgorithmE0EiEvPT1_S3_j
    .private_segment_fixed_size: 0
    .sgpr_count:     13
    .sgpr_spill_count: 0
    .symbol:         _Z19reduce_valid_kernelILj64ELN6hipcub20BlockReduceAlgorithmE0EiEvPT1_S3_j.kd
    .uniform_work_group_size: 1
    .uses_dynamic_stack: false
    .vgpr_count:     11
    .vgpr_spill_count: 0
    .wavefront_size: 64
  - .args:
      - .address_space:  global
        .offset:         0
        .size:           8
        .value_kind:     global_buffer
      - .address_space:  global
        .offset:         8
        .size:           8
        .value_kind:     global_buffer
    .group_segment_fixed_size: 64
    .kernarg_segment_align: 8
    .kernarg_segment_size: 16
    .language:       OpenCL C
    .language_version:
      - 2
      - 0
    .max_flat_workgroup_size: 32
    .name:           _Z19reduce_array_kernelILj32ELj4ELN6hipcub20BlockReduceAlgorithmE1E12hip_bfloat16EvPT2_S4_
    .private_segment_fixed_size: 0
    .sgpr_count:     12
    .sgpr_spill_count: 0
    .symbol:         _Z19reduce_array_kernelILj32ELj4ELN6hipcub20BlockReduceAlgorithmE1E12hip_bfloat16EvPT2_S4_.kd
    .uniform_work_group_size: 1
    .uses_dynamic_stack: false
    .vgpr_count:     6
    .vgpr_spill_count: 0
    .wavefront_size: 64
  - .args:
      - .address_space:  global
        .offset:         0
        .size:           8
        .value_kind:     global_buffer
      - .address_space:  global
        .offset:         8
        .size:           8
        .value_kind:     global_buffer
    .group_segment_fixed_size: 64
    .kernarg_segment_align: 8
    .kernarg_segment_size: 16
    .language:       OpenCL C
    .language_version:
      - 2
      - 0
    .max_flat_workgroup_size: 32
    .name:           _Z19reduce_array_kernelILj32ELj4ELN6hipcub20BlockReduceAlgorithmE1E6__halfEvPT2_S4_
    .private_segment_fixed_size: 0
    .sgpr_count:     12
    .sgpr_spill_count: 0
    .symbol:         _Z19reduce_array_kernelILj32ELj4ELN6hipcub20BlockReduceAlgorithmE1E6__halfEvPT2_S4_.kd
    .uniform_work_group_size: 1
    .uses_dynamic_stack: false
    .vgpr_count:     6
    .vgpr_spill_count: 0
    .wavefront_size: 64
  - .args:
      - .address_space:  global
        .offset:         0
        .size:           8
        .value_kind:     global_buffer
      - .address_space:  global
        .offset:         8
        .size:           8
        .value_kind:     global_buffer
    .group_segment_fixed_size: 1020
    .kernarg_segment_align: 8
    .kernarg_segment_size: 16
    .language:       OpenCL C
    .language_version:
      - 2
      - 0
    .max_flat_workgroup_size: 255
    .name:           _Z19reduce_array_kernelILj255ELj15ELN6hipcub20BlockReduceAlgorithmE1EfEvPT2_S3_
    .private_segment_fixed_size: 0
    .sgpr_count:     12
    .sgpr_spill_count: 0
    .symbol:         _Z19reduce_array_kernelILj255ELj15ELN6hipcub20BlockReduceAlgorithmE1EfEvPT2_S3_.kd
    .uniform_work_group_size: 1
    .uses_dynamic_stack: false
    .vgpr_count:     19
    .vgpr_spill_count: 0
    .wavefront_size: 64
  - .args:
      - .address_space:  global
        .offset:         0
        .size:           8
        .value_kind:     global_buffer
      - .address_space:  global
        .offset:         8
        .size:           8
        .value_kind:     global_buffer
    .group_segment_fixed_size: 648
    .kernarg_segment_align: 8
    .kernarg_segment_size: 16
    .language:       OpenCL C
    .language_version:
      - 2
      - 0
    .max_flat_workgroup_size: 162
    .name:           _Z19reduce_array_kernelILj162ELj7ELN6hipcub20BlockReduceAlgorithmE1EfEvPT2_S3_
    .private_segment_fixed_size: 0
    .sgpr_count:     12
    .sgpr_spill_count: 0
    .symbol:         _Z19reduce_array_kernelILj162ELj7ELN6hipcub20BlockReduceAlgorithmE1EfEvPT2_S3_.kd
    .uniform_work_group_size: 1
    .uses_dynamic_stack: false
    .vgpr_count:     24
    .vgpr_spill_count: 0
    .wavefront_size: 64
  - .args:
      - .address_space:  global
        .offset:         0
        .size:           8
        .value_kind:     global_buffer
      - .address_space:  global
        .offset:         8
        .size:           8
        .value_kind:     global_buffer
    .group_segment_fixed_size: 260
    .kernarg_segment_align: 8
    .kernarg_segment_size: 16
    .language:       OpenCL C
    .language_version:
      - 2
      - 0
    .max_flat_workgroup_size: 65
    .name:           _Z19reduce_array_kernelILj65ELj5ELN6hipcub20BlockReduceAlgorithmE1EfEvPT2_S3_
    .private_segment_fixed_size: 0
    .sgpr_count:     12
    .sgpr_spill_count: 0
    .symbol:         _Z19reduce_array_kernelILj65ELj5ELN6hipcub20BlockReduceAlgorithmE1EfEvPT2_S3_.kd
    .uniform_work_group_size: 1
    .uses_dynamic_stack: false
    .vgpr_count:     16
    .vgpr_spill_count: 0
    .wavefront_size: 64
  - .args:
      - .address_space:  global
        .offset:         0
        .size:           8
        .value_kind:     global_buffer
      - .address_space:  global
        .offset:         8
        .size:           8
        .value_kind:     global_buffer
    .group_segment_fixed_size: 148
    .kernarg_segment_align: 8
    .kernarg_segment_size: 16
    .language:       OpenCL C
    .language_version:
      - 2
      - 0
    .max_flat_workgroup_size: 37
    .name:           _Z19reduce_array_kernelILj37ELj2ELN6hipcub20BlockReduceAlgorithmE1EfEvPT2_S3_
    .private_segment_fixed_size: 0
    .sgpr_count:     12
    .sgpr_spill_count: 0
    .symbol:         _Z19reduce_array_kernelILj37ELj2ELN6hipcub20BlockReduceAlgorithmE1EfEvPT2_S3_.kd
    .uniform_work_group_size: 1
    .uses_dynamic_stack: false
    .vgpr_count:     8
    .vgpr_spill_count: 0
    .wavefront_size: 64
  - .args:
      - .address_space:  global
        .offset:         0
        .size:           8
        .value_kind:     global_buffer
      - .address_space:  global
        .offset:         8
        .size:           8
        .value_kind:     global_buffer
    .group_segment_fixed_size: 4096
    .kernarg_segment_align: 8
    .kernarg_segment_size: 16
    .language:       OpenCL C
    .language_version:
      - 2
      - 0
    .max_flat_workgroup_size: 1024
    .name:           _Z19reduce_array_kernelILj1024ELj1ELN6hipcub20BlockReduceAlgorithmE1EfEvPT2_S3_
    .private_segment_fixed_size: 0
    .sgpr_count:     12
    .sgpr_spill_count: 0
    .symbol:         _Z19reduce_array_kernelILj1024ELj1ELN6hipcub20BlockReduceAlgorithmE1EfEvPT2_S3_.kd
    .uniform_work_group_size: 1
    .uses_dynamic_stack: false
    .vgpr_count:     20
    .vgpr_spill_count: 0
    .wavefront_size: 64
  - .args:
      - .address_space:  global
        .offset:         0
        .size:           8
        .value_kind:     global_buffer
      - .address_space:  global
        .offset:         8
        .size:           8
        .value_kind:     global_buffer
    .group_segment_fixed_size: 2048
    .kernarg_segment_align: 8
    .kernarg_segment_size: 16
    .language:       OpenCL C
    .language_version:
      - 2
      - 0
    .max_flat_workgroup_size: 512
    .name:           _Z19reduce_array_kernelILj512ELj4ELN6hipcub20BlockReduceAlgorithmE1EjEvPT2_S3_
    .private_segment_fixed_size: 0
    .sgpr_count:     12
    .sgpr_spill_count: 0
    .symbol:         _Z19reduce_array_kernelILj512ELj4ELN6hipcub20BlockReduceAlgorithmE1EjEvPT2_S3_.kd
    .uniform_work_group_size: 1
    .uses_dynamic_stack: false
    .vgpr_count:     12
    .vgpr_spill_count: 0
    .wavefront_size: 64
  - .args:
      - .address_space:  global
        .offset:         0
        .size:           8
        .value_kind:     global_buffer
      - .address_space:  global
        .offset:         8
        .size:           8
        .value_kind:     global_buffer
    .group_segment_fixed_size: 1024
    .kernarg_segment_align: 8
    .kernarg_segment_size: 16
    .language:       OpenCL C
    .language_version:
      - 2
      - 0
    .max_flat_workgroup_size: 256
    .name:           _Z19reduce_array_kernelILj256ELj3ELN6hipcub20BlockReduceAlgorithmE1EiEvPT2_S3_
    .private_segment_fixed_size: 0
    .sgpr_count:     12
    .sgpr_spill_count: 0
    .symbol:         _Z19reduce_array_kernelILj256ELj3ELN6hipcub20BlockReduceAlgorithmE1EiEvPT2_S3_.kd
    .uniform_work_group_size: 1
    .uses_dynamic_stack: false
    .vgpr_count:     11
    .vgpr_spill_count: 0
    .wavefront_size: 64
  - .args:
      - .address_space:  global
        .offset:         0
        .size:           8
        .value_kind:     global_buffer
      - .address_space:  global
        .offset:         8
        .size:           8
        .value_kind:     global_buffer
    .group_segment_fixed_size: 128
    .kernarg_segment_align: 8
    .kernarg_segment_size: 16
    .language:       OpenCL C
    .language_version:
      - 2
      - 0
    .max_flat_workgroup_size: 32
    .name:           _Z19reduce_array_kernelILj32ELj2ELN6hipcub20BlockReduceAlgorithmE1EfEvPT2_S3_
    .private_segment_fixed_size: 0
    .sgpr_count:     12
    .sgpr_spill_count: 0
    .symbol:         _Z19reduce_array_kernelILj32ELj2ELN6hipcub20BlockReduceAlgorithmE1EfEvPT2_S3_.kd
    .uniform_work_group_size: 1
    .uses_dynamic_stack: false
    .vgpr_count:     7
    .vgpr_spill_count: 0
    .wavefront_size: 64
  - .args:
      - .address_space:  global
        .offset:         0
        .size:           8
        .value_kind:     global_buffer
      - .address_space:  global
        .offset:         8
        .size:           8
        .value_kind:     global_buffer
    .group_segment_fixed_size: 24
    .kernarg_segment_align: 8
    .kernarg_segment_size: 16
    .language:       OpenCL C
    .language_version:
      - 2
      - 0
    .max_flat_workgroup_size: 6
    .name:           _Z19reduce_array_kernelILj6ELj32ELN6hipcub20BlockReduceAlgorithmE1EfEvPT2_S3_
    .private_segment_fixed_size: 0
    .sgpr_count:     12
    .sgpr_spill_count: 0
    .symbol:         _Z19reduce_array_kernelILj6ELj32ELN6hipcub20BlockReduceAlgorithmE1EfEvPT2_S3_.kd
    .uniform_work_group_size: 1
    .uses_dynamic_stack: false
    .vgpr_count:     21
    .vgpr_spill_count: 0
    .wavefront_size: 64
  - .args:
      - .address_space:  global
        .offset:         0
        .size:           8
        .value_kind:     global_buffer
      - .address_space:  global
        .offset:         8
        .size:           8
        .value_kind:     global_buffer
    .group_segment_fixed_size: 0
    .kernarg_segment_align: 8
    .kernarg_segment_size: 16
    .language:       OpenCL C
    .language_version:
      - 2
      - 0
    .max_flat_workgroup_size: 32
    .name:           _Z19reduce_array_kernelILj32ELj4ELN6hipcub20BlockReduceAlgorithmE0E12hip_bfloat16EvPT2_S4_
    .private_segment_fixed_size: 0
    .sgpr_count:     12
    .sgpr_spill_count: 0
    .symbol:         _Z19reduce_array_kernelILj32ELj4ELN6hipcub20BlockReduceAlgorithmE0E12hip_bfloat16EvPT2_S4_.kd
    .uniform_work_group_size: 1
    .uses_dynamic_stack: false
    .vgpr_count:     6
    .vgpr_spill_count: 0
    .wavefront_size: 64
  - .args:
      - .address_space:  global
        .offset:         0
        .size:           8
        .value_kind:     global_buffer
      - .address_space:  global
        .offset:         8
        .size:           8
        .value_kind:     global_buffer
    .group_segment_fixed_size: 0
    .kernarg_segment_align: 8
    .kernarg_segment_size: 16
    .language:       OpenCL C
    .language_version:
      - 2
      - 0
    .max_flat_workgroup_size: 32
    .name:           _Z19reduce_array_kernelILj32ELj4ELN6hipcub20BlockReduceAlgorithmE0E6__halfEvPT2_S4_
    .private_segment_fixed_size: 0
    .sgpr_count:     12
    .sgpr_spill_count: 0
    .symbol:         _Z19reduce_array_kernelILj32ELj4ELN6hipcub20BlockReduceAlgorithmE0E6__halfEvPT2_S4_.kd
    .uniform_work_group_size: 1
    .uses_dynamic_stack: false
    .vgpr_count:     7
    .vgpr_spill_count: 0
    .wavefront_size: 64
  - .args:
      - .address_space:  global
        .offset:         0
        .size:           8
        .value_kind:     global_buffer
      - .address_space:  global
        .offset:         8
        .size:           8
        .value_kind:     global_buffer
    .group_segment_fixed_size: 16
    .kernarg_segment_align: 8
    .kernarg_segment_size: 16
    .language:       OpenCL C
    .language_version:
      - 2
      - 0
    .max_flat_workgroup_size: 255
    .name:           _Z19reduce_array_kernelILj255ELj15ELN6hipcub20BlockReduceAlgorithmE0EfEvPT2_S3_
    .private_segment_fixed_size: 0
    .sgpr_count:     12
    .sgpr_spill_count: 0
    .symbol:         _Z19reduce_array_kernelILj255ELj15ELN6hipcub20BlockReduceAlgorithmE0EfEvPT2_S3_.kd
    .uniform_work_group_size: 1
    .uses_dynamic_stack: false
    .vgpr_count:     19
    .vgpr_spill_count: 0
    .wavefront_size: 64
  - .args:
      - .address_space:  global
        .offset:         0
        .size:           8
        .value_kind:     global_buffer
      - .address_space:  global
        .offset:         8
        .size:           8
        .value_kind:     global_buffer
    .group_segment_fixed_size: 12
    .kernarg_segment_align: 8
    .kernarg_segment_size: 16
    .language:       OpenCL C
    .language_version:
      - 2
      - 0
    .max_flat_workgroup_size: 162
    .name:           _Z19reduce_array_kernelILj162ELj7ELN6hipcub20BlockReduceAlgorithmE0EfEvPT2_S3_
    .private_segment_fixed_size: 0
    .sgpr_count:     12
    .sgpr_spill_count: 0
    .symbol:         _Z19reduce_array_kernelILj162ELj7ELN6hipcub20BlockReduceAlgorithmE0EfEvPT2_S3_.kd
    .uniform_work_group_size: 1
    .uses_dynamic_stack: false
    .vgpr_count:     22
    .vgpr_spill_count: 0
    .wavefront_size: 64
  - .args:
      - .address_space:  global
        .offset:         0
        .size:           8
        .value_kind:     global_buffer
      - .address_space:  global
        .offset:         8
        .size:           8
        .value_kind:     global_buffer
    .group_segment_fixed_size: 8
    .kernarg_segment_align: 8
    .kernarg_segment_size: 16
    .language:       OpenCL C
    .language_version:
      - 2
      - 0
    .max_flat_workgroup_size: 65
    .name:           _Z19reduce_array_kernelILj65ELj5ELN6hipcub20BlockReduceAlgorithmE0EfEvPT2_S3_
    .private_segment_fixed_size: 0
    .sgpr_count:     12
    .sgpr_spill_count: 0
    .symbol:         _Z19reduce_array_kernelILj65ELj5ELN6hipcub20BlockReduceAlgorithmE0EfEvPT2_S3_.kd
    .uniform_work_group_size: 1
    .uses_dynamic_stack: false
    .vgpr_count:     16
    .vgpr_spill_count: 0
    .wavefront_size: 64
  - .args:
      - .address_space:  global
        .offset:         0
        .size:           8
        .value_kind:     global_buffer
      - .address_space:  global
        .offset:         8
        .size:           8
        .value_kind:     global_buffer
    .group_segment_fixed_size: 0
    .kernarg_segment_align: 8
    .kernarg_segment_size: 16
    .language:       OpenCL C
    .language_version:
      - 2
      - 0
    .max_flat_workgroup_size: 37
    .name:           _Z19reduce_array_kernelILj37ELj2ELN6hipcub20BlockReduceAlgorithmE0EfEvPT2_S3_
    .private_segment_fixed_size: 0
    .sgpr_count:     12
    .sgpr_spill_count: 0
    .symbol:         _Z19reduce_array_kernelILj37ELj2ELN6hipcub20BlockReduceAlgorithmE0EfEvPT2_S3_.kd
    .uniform_work_group_size: 1
    .uses_dynamic_stack: false
    .vgpr_count:     9
    .vgpr_spill_count: 0
    .wavefront_size: 64
  - .args:
      - .address_space:  global
        .offset:         0
        .size:           8
        .value_kind:     global_buffer
      - .address_space:  global
        .offset:         8
        .size:           8
        .value_kind:     global_buffer
    .group_segment_fixed_size: 64
    .kernarg_segment_align: 8
    .kernarg_segment_size: 16
    .language:       OpenCL C
    .language_version:
      - 2
      - 0
    .max_flat_workgroup_size: 1024
    .name:           _Z19reduce_array_kernelILj1024ELj1ELN6hipcub20BlockReduceAlgorithmE0EfEvPT2_S3_
    .private_segment_fixed_size: 0
    .sgpr_count:     12
    .sgpr_spill_count: 0
    .symbol:         _Z19reduce_array_kernelILj1024ELj1ELN6hipcub20BlockReduceAlgorithmE0EfEvPT2_S3_.kd
    .uniform_work_group_size: 1
    .uses_dynamic_stack: false
    .vgpr_count:     7
    .vgpr_spill_count: 0
    .wavefront_size: 64
  - .args:
      - .address_space:  global
        .offset:         0
        .size:           8
        .value_kind:     global_buffer
      - .address_space:  global
        .offset:         8
        .size:           8
        .value_kind:     global_buffer
    .group_segment_fixed_size: 32
    .kernarg_segment_align: 8
    .kernarg_segment_size: 16
    .language:       OpenCL C
    .language_version:
      - 2
      - 0
    .max_flat_workgroup_size: 512
    .name:           _Z19reduce_array_kernelILj512ELj4ELN6hipcub20BlockReduceAlgorithmE0EiEvPT2_S3_
    .private_segment_fixed_size: 0
    .sgpr_count:     12
    .sgpr_spill_count: 0
    .symbol:         _Z19reduce_array_kernelILj512ELj4ELN6hipcub20BlockReduceAlgorithmE0EiEvPT2_S3_.kd
    .uniform_work_group_size: 1
    .uses_dynamic_stack: false
    .vgpr_count:     7
    .vgpr_spill_count: 0
    .wavefront_size: 64
  - .args:
      - .address_space:  global
        .offset:         0
        .size:           8
        .value_kind:     global_buffer
      - .address_space:  global
        .offset:         8
        .size:           8
        .value_kind:     global_buffer
    .group_segment_fixed_size: 16
    .kernarg_segment_align: 8
    .kernarg_segment_size: 16
    .language:       OpenCL C
    .language_version:
      - 2
      - 0
    .max_flat_workgroup_size: 256
    .name:           _Z19reduce_array_kernelILj256ELj3ELN6hipcub20BlockReduceAlgorithmE0EjEvPT2_S3_
    .private_segment_fixed_size: 0
    .sgpr_count:     12
    .sgpr_spill_count: 0
    .symbol:         _Z19reduce_array_kernelILj256ELj3ELN6hipcub20BlockReduceAlgorithmE0EjEvPT2_S3_.kd
    .uniform_work_group_size: 1
    .uses_dynamic_stack: false
    .vgpr_count:     10
    .vgpr_spill_count: 0
    .wavefront_size: 64
  - .args:
      - .address_space:  global
        .offset:         0
        .size:           8
        .value_kind:     global_buffer
      - .address_space:  global
        .offset:         8
        .size:           8
        .value_kind:     global_buffer
    .group_segment_fixed_size: 0
    .kernarg_segment_align: 8
    .kernarg_segment_size: 16
    .language:       OpenCL C
    .language_version:
      - 2
      - 0
    .max_flat_workgroup_size: 32
    .name:           _Z19reduce_array_kernelILj32ELj2ELN6hipcub20BlockReduceAlgorithmE0EfEvPT2_S3_
    .private_segment_fixed_size: 0
    .sgpr_count:     12
    .sgpr_spill_count: 0
    .symbol:         _Z19reduce_array_kernelILj32ELj2ELN6hipcub20BlockReduceAlgorithmE0EfEvPT2_S3_.kd
    .uniform_work_group_size: 1
    .uses_dynamic_stack: false
    .vgpr_count:     7
    .vgpr_spill_count: 0
    .wavefront_size: 64
  - .args:
      - .address_space:  global
        .offset:         0
        .size:           8
        .value_kind:     global_buffer
      - .address_space:  global
        .offset:         8
        .size:           8
        .value_kind:     global_buffer
    .group_segment_fixed_size: 0
    .kernarg_segment_align: 8
    .kernarg_segment_size: 16
    .language:       OpenCL C
    .language_version:
      - 2
      - 0
    .max_flat_workgroup_size: 6
    .name:           _Z19reduce_array_kernelILj6ELj32ELN6hipcub20BlockReduceAlgorithmE0EfEvPT2_S3_
    .private_segment_fixed_size: 0
    .sgpr_count:     12
    .sgpr_spill_count: 0
    .symbol:         _Z19reduce_array_kernelILj6ELj32ELN6hipcub20BlockReduceAlgorithmE0EfEvPT2_S3_.kd
    .uniform_work_group_size: 1
    .uses_dynamic_stack: false
    .vgpr_count:     21
    .vgpr_spill_count: 0
    .wavefront_size: 64
amdhsa.target:   amdgcn-amd-amdhsa--gfx906
amdhsa.version:
  - 1
  - 2
...

	.end_amdgpu_metadata
